;; amdgpu-corpus repo=ROCm/rocFFT kind=compiled arch=gfx1030 opt=O3
	.text
	.amdgcn_target "amdgcn-amd-amdhsa--gfx1030"
	.amdhsa_code_object_version 6
	.protected	bluestein_single_fwd_len1331_dim1_sp_op_CI_CI ; -- Begin function bluestein_single_fwd_len1331_dim1_sp_op_CI_CI
	.globl	bluestein_single_fwd_len1331_dim1_sp_op_CI_CI
	.p2align	8
	.type	bluestein_single_fwd_len1331_dim1_sp_op_CI_CI,@function
bluestein_single_fwd_len1331_dim1_sp_op_CI_CI: ; @bluestein_single_fwd_len1331_dim1_sp_op_CI_CI
; %bb.0:
	s_load_dwordx4 s[12:15], s[4:5], 0x28
	v_mul_u32_u24_e32 v1, 0x21e, v0
	v_mov_b32_e32 v61, 0
	s_mov_b32 s0, exec_lo
	v_lshrrev_b32_e32 v24, 16, v1
	v_lshl_add_u32 v60, s6, 1, v24
	s_waitcnt lgkmcnt(0)
	v_cmpx_gt_u64_e64 s[12:13], v[60:61]
	s_cbranch_execz .LBB0_2
; %bb.1:
	s_clause 0x1
	s_load_dwordx4 s[0:3], s[4:5], 0x18
	s_load_dwordx4 s[8:11], s[4:5], 0x0
	v_mul_lo_u16 v1, 0x79, v24
	v_and_b32_e32 v24, 1, v24
	v_sub_nc_u16 v22, v0, v1
	v_and_b32_e32 v85, 0xffff, v22
	v_lshlrev_b32_e32 v23, 3, v85
	s_waitcnt lgkmcnt(0)
	s_load_dwordx4 s[16:19], s[0:1], 0x0
	s_clause 0x2
	global_load_dwordx2 v[81:82], v23, s[8:9]
	global_load_dwordx2 v[75:76], v23, s[8:9] offset:968
	global_load_dwordx2 v[73:74], v23, s[8:9] offset:1936
	v_add_co_u32 v44, s0, s8, v23
	v_add_co_ci_u32_e64 v45, null, s9, 0, s0
	v_add_co_u32 v2, vcc_lo, 0x800, v44
	v_add_co_ci_u32_e32 v3, vcc_lo, 0, v45, vcc_lo
	v_add_co_u32 v6, vcc_lo, 0x1000, v44
	v_add_co_ci_u32_e32 v7, vcc_lo, 0, v45, vcc_lo
	s_clause 0x3
	global_load_dwordx2 v[79:80], v[2:3], off offset:856
	global_load_dwordx2 v[77:78], v[2:3], off offset:1824
	;; [unrolled: 1-line block ×4, first 2 shown]
	s_waitcnt lgkmcnt(0)
	v_mad_u64_u32 v[0:1], null, s18, v60, 0
	v_mad_u64_u32 v[4:5], null, s16, v85, 0
	s_mul_i32 s0, s17, 0x3c8
	s_mul_hi_u32 s1, s16, 0x3c8
	s_mul_i32 s6, s16, 0x3c8
	s_add_i32 s1, s1, s0
	v_mad_u64_u32 v[8:9], null, s19, v60, v[1:2]
	v_mov_b32_e32 v1, v5
	v_add_co_u32 v9, vcc_lo, 0x1800, v44
	v_add_co_ci_u32_e32 v10, vcc_lo, 0, v45, vcc_lo
	v_mad_u64_u32 v[11:12], null, s17, v85, v[1:2]
	v_mov_b32_e32 v1, v8
	v_add_co_u32 v20, vcc_lo, 0x2000, v44
	v_add_co_ci_u32_e32 v21, vcc_lo, 0, v45, vcc_lo
	v_lshlrev_b64 v[0:1], 3, v[0:1]
	v_mov_b32_e32 v5, v11
	s_clause 0x1
	global_load_dwordx2 v[65:66], v[9:10], off offset:632
	global_load_dwordx2 v[61:62], v[9:10], off offset:1600
	v_lshlrev_b64 v[2:3], 3, v[4:5]
	v_add_co_u32 v0, vcc_lo, s14, v0
	v_add_co_ci_u32_e32 v1, vcc_lo, s15, v1, vcc_lo
	v_add_co_u32 v0, vcc_lo, v0, v2
	v_add_co_ci_u32_e32 v1, vcc_lo, v1, v3, vcc_lo
	;; [unrolled: 2-line block ×3, first 2 shown]
	global_load_dwordx2 v[12:13], v[0:1], off
	v_add_co_u32 v4, vcc_lo, v2, s6
	global_load_dwordx2 v[16:17], v[2:3], off
	v_add_co_ci_u32_e32 v5, vcc_lo, s1, v3, vcc_lo
	v_add_co_u32 v0, vcc_lo, v4, s6
	v_add_co_ci_u32_e32 v1, vcc_lo, s1, v5, vcc_lo
	v_add_co_u32 v2, vcc_lo, v0, s6
	s_clause 0x1
	global_load_dwordx2 v[14:15], v[4:5], off
	global_load_dwordx2 v[6:7], v[0:1], off
	v_add_co_ci_u32_e32 v3, vcc_lo, s1, v1, vcc_lo
	v_add_co_u32 v0, vcc_lo, v2, s6
	v_add_co_ci_u32_e32 v1, vcc_lo, s1, v3, vcc_lo
	global_load_dwordx2 v[8:9], v[2:3], off
	v_add_co_u32 v2, vcc_lo, v0, s6
	v_add_co_ci_u32_e32 v3, vcc_lo, s1, v1, vcc_lo
	global_load_dwordx2 v[10:11], v[0:1], off
	;; [unrolled: 3-line block ×6, first 2 shown]
	s_clause 0x1
	global_load_dwordx2 v[67:68], v[20:21], off offset:520
	global_load_dwordx2 v[69:70], v[20:21], off offset:1488
	global_load_dwordx2 v[20:21], v[27:28], off
	v_and_b32_e32 v25, 0xff, v22
	v_cmp_eq_u32_e32 vcc_lo, 1, v24
	s_load_dwordx4 s[0:3], s[2:3], 0x0
	s_mov_b32 s6, 0x3fdb1246
	s_mov_b32 s7, 0x3f489e7c
	v_mul_lo_u16 v25, 0x75, v25
	v_cndmask_b32_e64 v36, 0, 0x2998, vcc_lo
	v_lshrrev_b16 v25, 8, v25
	v_add_nc_u32_e32 v86, v36, v23
	v_sub_nc_u16 v26, v22, v25
	v_add_nc_u32_e32 v90, 0x400, v86
	v_add_nc_u32_e32 v89, 0xc00, v86
	;; [unrolled: 1-line block ×4, first 2 shown]
	v_lshrrev_b16 v24, 1, v26
	v_and_b32_e32 v23, 0x7f, v24
	v_add_nc_u16 v23, v23, v25
	v_lshrrev_b16 v23, 3, v23
	v_mul_lo_u16 v28, v23, 11
	s_waitcnt vmcnt(12)
	v_mul_f32_e32 v25, v12, v82
	v_mul_f32_e32 v24, v13, v82
	s_waitcnt vmcnt(11)
	v_mul_f32_e32 v26, v17, v76
	v_mul_f32_e32 v27, v16, v76
	v_fma_f32 v25, v13, v81, -v25
	v_fmac_f32_e32 v24, v12, v81
	v_fmac_f32_e32 v26, v16, v75
	v_fma_f32 v27, v17, v75, -v27
	s_waitcnt vmcnt(10)
	v_mul_f32_e32 v13, v14, v74
	s_waitcnt vmcnt(9)
	v_mul_f32_e32 v16, v7, v80
	v_mul_f32_e32 v12, v15, v74
	ds_write2_b64 v86, v[24:25], v[26:27] offset1:121
	v_fma_f32 v13, v15, v73, -v13
	v_mul_f32_e32 v15, v6, v80
	v_fmac_f32_e32 v16, v6, v79
	v_fmac_f32_e32 v12, v14, v73
	s_waitcnt vmcnt(8)
	v_mul_f32_e32 v6, v9, v78
	v_mul_f32_e32 v24, v8, v78
	v_fma_f32 v17, v7, v79, -v15
	s_waitcnt vmcnt(7)
	v_mul_f32_e32 v15, v10, v72
	v_fmac_f32_e32 v6, v8, v77
	v_mul_f32_e32 v14, v11, v72
	v_fma_f32 v7, v9, v77, -v24
	s_waitcnt vmcnt(6)
	v_mul_f32_e32 v8, v3, v64
	v_fma_f32 v15, v11, v71, -v15
	v_mul_f32_e32 v9, v2, v64
	v_fmac_f32_e32 v14, v10, v71
	s_waitcnt vmcnt(5)
	v_mul_f32_e32 v11, v4, v66
	v_fmac_f32_e32 v8, v2, v63
	v_mul_f32_e32 v10, v5, v66
	v_fma_f32 v9, v3, v63, -v9
	s_waitcnt vmcnt(4)
	v_mul_f32_e32 v2, v1, v62
	v_fma_f32 v11, v5, v65, -v11
	v_mul_f32_e32 v3, v0, v62
	s_waitcnt vmcnt(2)
	v_mul_f32_e32 v5, v18, v68
	v_fmac_f32_e32 v10, v4, v65
	v_fmac_f32_e32 v2, v0, v61
	v_mul_f32_e32 v0, v19, v68
	s_waitcnt vmcnt(0)
	v_mul_f32_e32 v4, v21, v70
	v_mul_f32_e32 v24, v20, v70
	v_fma_f32 v3, v1, v61, -v3
	v_fma_f32 v1, v19, v67, -v5
	v_fmac_f32_e32 v0, v18, v67
	v_fmac_f32_e32 v4, v20, v69
	v_fma_f32 v5, v21, v69, -v24
	ds_write2_b64 v90, v[12:13], v[16:17] offset0:114 offset1:235
	ds_write2_b64 v89, v[6:7], v[14:15] offset0:100 offset1:221
	;; [unrolled: 1-line block ×4, first 2 shown]
	ds_write_b64 v86, v[4:5] offset:9680
	s_waitcnt lgkmcnt(0)
	s_barrier
	buffer_gl0_inv
	ds_read2_b64 v[0:3], v86 offset1:121
	v_mov_b32_e32 v12, 10
	ds_read_b64 v[24:25], v86 offset:9680
	v_mul_lo_u16 v13, v22, 11
	v_sub_nc_u16 v20, v22, v28
	ds_read2_b64 v[4:7], v89 offset0:100 offset1:221
	ds_read2_b64 v[8:11], v88 offset0:86 offset1:207
	v_and_b32_e32 v21, 0xffff, v13
	v_mul_u32_u24_sdwa v22, v20, v12 dst_sel:DWORD dst_unused:UNUSED_PAD src0_sel:BYTE_0 src1_sel:DWORD
	ds_read2_b64 v[12:15], v90 offset0:114 offset1:235
	ds_read2_b64 v[16:19], v87 offset0:72 offset1:193
	s_waitcnt lgkmcnt(0)
	s_barrier
	v_lshl_add_u32 v91, v21, 3, v36
	v_lshlrev_b32_e32 v21, 3, v22
	buffer_gl0_inv
	v_add_f32_e32 v22, v0, v2
	v_add_f32_e32 v26, v1, v3
	;; [unrolled: 1-line block ×4, first 2 shown]
	v_sub_f32_e32 v3, v3, v25
	v_sub_f32_e32 v2, v2, v24
	;; [unrolled: 1-line block ×6, first 2 shown]
	v_add_f32_e32 v38, v18, v12
	v_add_f32_e32 v39, v19, v13
	v_sub_f32_e32 v40, v12, v18
	v_sub_f32_e32 v41, v13, v19
	;; [unrolled: 1-line block ×4, first 2 shown]
	v_add_f32_e32 v12, v22, v12
	v_add_f32_e32 v13, v26, v13
	v_mul_f32_e32 v22, 0xbf0a6770, v3
	v_mul_f32_e32 v26, 0xbf0a6770, v2
	;; [unrolled: 1-line block ×6, first 2 shown]
	v_add_f32_e32 v29, v10, v4
	v_add_f32_e32 v30, v11, v5
	;; [unrolled: 1-line block ×6, first 2 shown]
	v_mul_f32_e32 v52, 0xbf4178ce, v3
	v_mul_f32_e32 v53, 0xbf4178ce, v2
	v_mul_f32_e32 v3, 0xbe903f40, v3
	v_mul_f32_e32 v2, 0xbe903f40, v2
	v_mul_f32_e32 v54, 0xbf68dda4, v41
	v_mul_f32_e32 v55, 0xbf68dda4, v40
	v_mul_f32_e32 v56, 0xbf7d64f0, v47
	v_mul_f32_e32 v57, 0xbf7d64f0, v46
	v_mul_f32_e32 v58, 0xbf4178ce, v32
	v_mul_f32_e32 v59, 0xbf4178ce, v41
	v_mul_f32_e32 v83, 0xbf4178ce, v40
	v_mul_f32_e32 v84, 0x3e903f40, v47
	v_mul_f32_e32 v92, 0x3e903f40, v46
	v_mul_f32_e32 v93, 0x3e903f40, v41
	v_mul_f32_e32 v94, 0x3e903f40, v40
	v_mul_f32_e32 v95, 0x3f68dda4, v47
	v_mul_f32_e32 v96, 0x3f68dda4, v46
	v_mul_f32_e32 v97, 0x3f7d64f0, v41
	v_mul_f32_e32 v41, 0x3f0a6770, v41
	v_mul_f32_e32 v98, 0x3f7d64f0, v40
	v_mul_f32_e32 v40, 0x3f0a6770, v40
	v_mul_f32_e32 v99, 0xbf0a6770, v47
	v_mul_f32_e32 v47, 0xbf4178ce, v47
	v_mul_f32_e32 v100, 0xbf0a6770, v46
	v_mul_f32_e32 v46, 0xbf4178ce, v46
	v_mul_f32_e32 v101, 0x3f7d64f0, v32
	v_mul_f32_e32 v102, 0xbf0a6770, v32
	v_mul_f32_e32 v103, 0xbe903f40, v32
	v_mul_f32_e32 v32, 0x3f68dda4, v32
	v_mul_f32_e32 v104, 0xbf4178ce, v31
	v_mul_f32_e32 v105, 0x3f7d64f0, v31
	v_mul_f32_e32 v106, 0xbf0a6770, v31
	v_mul_f32_e32 v107, 0xbe903f40, v31
	v_mul_f32_e32 v31, 0x3f68dda4, v31
	v_mul_f32_e32 v108, 0xbe903f40, v37
	v_mul_f32_e32 v109, 0x3f0a6770, v37
	v_mul_f32_e32 v110, 0xbf4178ce, v37
	v_mul_f32_e32 v111, 0x3f68dda4, v37
	v_mul_f32_e32 v37, 0xbf7d64f0, v37
	v_mul_f32_e32 v112, 0xbe903f40, v35
	v_mul_f32_e32 v113, 0x3f0a6770, v35
	v_mul_f32_e32 v114, 0xbf4178ce, v35
	v_mul_f32_e32 v115, 0x3f68dda4, v35
	v_mul_f32_e32 v35, 0xbf7d64f0, v35
	v_add_f32_e32 v12, v12, v14
	v_add_f32_e32 v13, v13, v15
	v_fma_f32 v14, 0x3f575c64, v27, -v22
	v_fmamk_f32 v15, v28, 0x3f575c64, v26
	v_fmac_f32_e32 v22, 0x3f575c64, v27
	v_fma_f32 v26, 0x3f575c64, v28, -v26
	v_fma_f32 v116, 0x3ed4b147, v27, -v48
	v_fmamk_f32 v117, v28, 0x3ed4b147, v49
	v_fma_f32 v49, 0x3ed4b147, v28, -v49
	v_fma_f32 v118, 0xbe11bafb, v27, -v50
	v_fmamk_f32 v119, v28, 0xbe11bafb, v51
	v_fmac_f32_e32 v48, 0x3ed4b147, v27
	v_fmac_f32_e32 v50, 0xbe11bafb, v27
	v_fma_f32 v51, 0xbe11bafb, v28, -v51
	v_fma_f32 v120, 0xbf27a4f4, v27, -v52
	v_fmamk_f32 v121, v28, 0xbf27a4f4, v53
	v_fmac_f32_e32 v52, 0xbf27a4f4, v27
	v_fma_f32 v53, 0xbf27a4f4, v28, -v53
	v_fma_f32 v122, 0xbf75a155, v27, -v3
	v_fmac_f32_e32 v3, 0xbf75a155, v27
	v_fmamk_f32 v27, v28, 0xbf75a155, v2
	v_fma_f32 v2, 0xbf75a155, v28, -v2
	v_fma_f32 v28, 0x3ed4b147, v38, -v54
	v_fmamk_f32 v123, v39, 0x3ed4b147, v55
	v_fma_f32 v124, 0xbe11bafb, v42, -v56
	v_fmamk_f32 v125, v43, 0xbe11bafb, v57
	v_fmac_f32_e32 v54, 0x3ed4b147, v38
	v_fma_f32 v55, 0x3ed4b147, v39, -v55
	v_fmac_f32_e32 v56, 0xbe11bafb, v42
	v_fma_f32 v57, 0xbe11bafb, v43, -v57
	v_fma_f32 v126, 0xbf27a4f4, v38, -v59
	v_fmamk_f32 v127, v39, 0xbf27a4f4, v83
	v_fma_f32 v128, 0xbf75a155, v42, -v84
	v_fmamk_f32 v129, v43, 0xbf75a155, v92
	v_fmac_f32_e32 v59, 0xbf27a4f4, v38
	v_fma_f32 v83, 0xbf27a4f4, v39, -v83
	v_fmac_f32_e32 v84, 0xbf75a155, v42
	v_fma_f32 v92, 0xbf75a155, v43, -v92
	v_fma_f32 v130, 0xbf75a155, v38, -v93
	v_fmamk_f32 v131, v39, 0xbf75a155, v94
	v_fma_f32 v132, 0x3ed4b147, v42, -v95
	v_fmac_f32_e32 v93, 0xbf75a155, v38
	v_fma_f32 v133, 0xbe11bafb, v38, -v97
	v_fmac_f32_e32 v97, 0xbe11bafb, v38
	;; [unrolled: 2-line block ×3, first 2 shown]
	v_fmamk_f32 v38, v43, 0x3ed4b147, v96
	v_fma_f32 v94, 0xbf75a155, v39, -v94
	v_fmamk_f32 v135, v39, 0xbe11bafb, v98
	v_fma_f32 v98, 0xbe11bafb, v39, -v98
	;; [unrolled: 2-line block ×3, first 2 shown]
	v_fmac_f32_e32 v95, 0x3ed4b147, v42
	v_fma_f32 v40, 0x3f575c64, v42, -v99
	v_fmac_f32_e32 v99, 0x3f575c64, v42
	v_fma_f32 v137, 0xbf27a4f4, v42, -v47
	;; [unrolled: 2-line block ×3, first 2 shown]
	v_fmamk_f32 v96, v43, 0x3f575c64, v100
	v_fma_f32 v100, 0x3f575c64, v43, -v100
	v_fmamk_f32 v138, v43, 0xbf27a4f4, v46
	v_fma_f32 v43, 0xbf27a4f4, v43, -v46
	v_fma_f32 v46, 0xbf27a4f4, v29, -v58
	v_fmac_f32_e32 v58, 0xbf27a4f4, v29
	v_fma_f32 v139, 0xbe11bafb, v29, -v101
	v_fmac_f32_e32 v101, 0xbe11bafb, v29
	;; [unrolled: 2-line block ×5, first 2 shown]
	v_fmamk_f32 v29, v30, 0xbf27a4f4, v104
	v_fma_f32 v104, 0xbf27a4f4, v30, -v104
	v_fmamk_f32 v143, v30, 0xbe11bafb, v105
	v_fma_f32 v105, 0xbe11bafb, v30, -v105
	;; [unrolled: 2-line block ×5, first 2 shown]
	v_fma_f32 v31, 0xbf75a155, v33, -v108
	v_fmac_f32_e32 v108, 0xbf75a155, v33
	v_fma_f32 v147, 0x3f575c64, v33, -v109
	v_fmac_f32_e32 v109, 0x3f575c64, v33
	v_fma_f32 v148, 0xbf27a4f4, v33, -v110
	v_fmac_f32_e32 v110, 0xbf27a4f4, v33
	v_fma_f32 v149, 0x3ed4b147, v33, -v111
	v_fmac_f32_e32 v111, 0x3ed4b147, v33
	v_fma_f32 v150, 0xbe11bafb, v33, -v37
	v_fmac_f32_e32 v37, 0xbe11bafb, v33
	v_fmamk_f32 v33, v34, 0xbf75a155, v112
	v_fma_f32 v112, 0xbf75a155, v34, -v112
	v_fmamk_f32 v151, v34, 0x3f575c64, v113
	v_fma_f32 v113, 0x3f575c64, v34, -v113
	;; [unrolled: 2-line block ×5, first 2 shown]
	v_add_f32_e32 v14, v0, v14
	v_add_f32_e32 v15, v1, v15
	;; [unrolled: 1-line block ×112, first 2 shown]
	ds_write2_b64 v91, v[4:5], v[8:9] offset0:2 offset1:3
	v_add_f32_e32 v4, v22, v24
	v_add_f32_e32 v5, v26, v25
	ds_write2_b64 v91, v[12:13], v[16:17] offset0:4 offset1:5
	ds_write2_b64 v91, v[18:19], v[14:15] offset0:6 offset1:7
	;; [unrolled: 1-line block ×3, first 2 shown]
	ds_write_b64 v91, v[2:3] offset:80
	ds_write2_b64 v91, v[4:5], v[0:1] offset1:1
	s_waitcnt lgkmcnt(0)
	s_barrier
	buffer_gl0_inv
	s_clause 0x4
	global_load_dwordx4 v[0:3], v21, s[10:11]
	global_load_dwordx4 v[4:7], v21, s[10:11] offset:16
	global_load_dwordx4 v[8:11], v21, s[10:11] offset:32
	global_load_dwordx4 v[12:15], v21, s[10:11] offset:48
	global_load_dwordx4 v[16:19], v21, s[10:11] offset:64
	v_mov_b32_e32 v21, 0x79
	ds_read2_b64 v[28:31], v90 offset0:114 offset1:235
	ds_read2_b64 v[32:35], v89 offset0:100 offset1:221
	;; [unrolled: 1-line block ×3, first 2 shown]
	v_mad_u64_u32 v[40:41], null, 0x50, v85, s[10:11]
	v_mul_u32_u24_sdwa v21, v23, v21 dst_sel:DWORD dst_unused:UNUSED_PAD src0_sel:WORD_0 src1_sel:DWORD
	v_add_nc_u32_sdwa v37, v21, v20 dst_sel:DWORD dst_unused:UNUSED_PAD src0_sel:DWORD src1_sel:BYTE_0
	ds_read2_b64 v[20:23], v87 offset0:72 offset1:193
	v_lshl_add_u32 v92, v37, 3, v36
	ds_read_b64 v[42:43], v86 offset:9680
	ds_read2_b64 v[36:39], v86 offset1:121
	s_waitcnt vmcnt(0) lgkmcnt(0)
	s_barrier
	buffer_gl0_inv
	v_mul_f32_e32 v95, v38, v1
	v_mul_f32_e32 v96, v39, v1
	;; [unrolled: 1-line block ×20, first 2 shown]
	v_fmac_f32_e32 v53, v35, v8
	v_fma_f32 v35, v20, v14, -v58
	v_fma_f32 v42, v42, v18, -v93
	v_fmac_f32_e32 v94, v43, v18
	v_fmac_f32_e32 v95, v39, v0
	v_fma_f32 v20, v38, v0, -v96
	v_fma_f32 v28, v28, v2, -v46
	v_fmac_f32_e32 v47, v29, v2
	v_fma_f32 v29, v30, v4, -v48
	v_fmac_f32_e32 v49, v31, v4
	;; [unrolled: 2-line block ×3, first 2 shown]
	v_fma_f32 v31, v34, v8, -v52
	v_fma_f32 v24, v24, v10, -v54
	v_fmac_f32_e32 v55, v25, v10
	v_fma_f32 v25, v26, v12, -v56
	v_fmac_f32_e32 v57, v27, v12
	v_fmac_f32_e32 v59, v21, v14
	v_fma_f32 v38, v22, v16, -v83
	v_fmac_f32_e32 v84, v23, v16
	v_sub_f32_e32 v21, v95, v94
	v_add_f32_e32 v22, v20, v42
	v_sub_f32_e32 v23, v20, v42
	v_add_f32_e32 v20, v36, v20
	v_add_f32_e32 v27, v37, v95
	;; [unrolled: 1-line block ×3, first 2 shown]
	v_sub_f32_e32 v32, v47, v84
	v_sub_f32_e32 v34, v28, v38
	;; [unrolled: 1-line block ×8, first 2 shown]
	v_mul_f32_e32 v97, 0xbf0a6770, v21
	v_mul_f32_e32 v98, 0xbf68dda4, v21
	;; [unrolled: 1-line block ×8, first 2 shown]
	v_add_f32_e32 v20, v20, v28
	v_add_f32_e32 v27, v27, v47
	;; [unrolled: 1-line block ×10, first 2 shown]
	v_mul_f32_e32 v104, 0xbf4178ce, v23
	v_mul_f32_e32 v23, 0xbe903f40, v23
	;; [unrolled: 1-line block ×42, first 2 shown]
	v_fma_f32 v135, 0x3f575c64, v22, -v97
	v_fmac_f32_e32 v97, 0x3f575c64, v22
	v_fma_f32 v136, 0x3ed4b147, v22, -v98
	v_fmac_f32_e32 v98, 0x3ed4b147, v22
	;; [unrolled: 2-line block ×5, first 2 shown]
	v_fmamk_f32 v22, v26, 0x3f575c64, v101
	v_fma_f32 v101, 0x3f575c64, v26, -v101
	v_fmamk_f32 v140, v26, 0x3ed4b147, v102
	v_fma_f32 v102, 0x3ed4b147, v26, -v102
	v_fmamk_f32 v141, v26, 0xbe11bafb, v103
	v_add_f32_e32 v20, v20, v29
	v_add_f32_e32 v27, v27, v49
	v_fma_f32 v103, 0xbe11bafb, v26, -v103
	v_fmamk_f32 v142, v26, 0xbf27a4f4, v104
	v_fma_f32 v104, 0xbf27a4f4, v26, -v104
	v_fmamk_f32 v143, v26, 0xbf75a155, v23
	v_fma_f32 v23, 0xbf75a155, v26, -v23
	v_fma_f32 v26, 0xbf27a4f4, v33, -v105
	v_fmamk_f32 v144, v39, 0xbf27a4f4, v106
	v_fma_f32 v145, 0xbf75a155, v33, -v108
	v_fmamk_f32 v146, v39, 0xbf75a155, v109
	;; [unrolled: 2-line block ×3, first 2 shown]
	v_fmac_f32_e32 v111, 0x3ed4b147, v33
	v_fma_f32 v112, 0x3ed4b147, v39, -v112
	v_fmac_f32_e32 v105, 0xbf27a4f4, v33
	v_fma_f32 v106, 0xbf27a4f4, v39, -v106
	;; [unrolled: 2-line block ×3, first 2 shown]
	v_fma_f32 v149, 0xbe11bafb, v33, -v114
	v_fmamk_f32 v150, v39, 0xbe11bafb, v115
	v_fmac_f32_e32 v114, 0xbe11bafb, v33
	v_fma_f32 v115, 0xbe11bafb, v39, -v115
	v_fma_f32 v151, 0x3f575c64, v33, -v32
	v_fmac_f32_e32 v32, 0x3f575c64, v33
	v_fmamk_f32 v33, v39, 0x3f575c64, v34
	v_fma_f32 v34, 0x3f575c64, v39, -v34
	v_fma_f32 v39, 0xbe11bafb, v46, -v113
	v_fmac_f32_e32 v113, 0xbe11bafb, v46
	v_fma_f32 v152, 0xbf75a155, v46, -v107
	v_fmac_f32_e32 v107, 0xbf75a155, v46
	v_fma_f32 v153, 0x3ed4b147, v46, -v110
	v_fmac_f32_e32 v110, 0x3ed4b147, v46
	v_fma_f32 v154, 0x3f575c64, v46, -v28
	v_fmac_f32_e32 v28, 0x3f575c64, v46
	v_fma_f32 v155, 0xbf27a4f4, v46, -v43
	v_fmac_f32_e32 v43, 0xbf27a4f4, v46
	v_fmamk_f32 v29, v50, 0xbe11bafb, v47
	v_fma_f32 v46, 0xbe11bafb, v50, -v47
	v_fmamk_f32 v47, v50, 0xbf75a155, v116
	v_fma_f32 v49, 0xbf75a155, v50, -v116
	v_fmamk_f32 v116, v50, 0x3ed4b147, v117
	v_fma_f32 v117, 0x3ed4b147, v50, -v117
	v_fmamk_f32 v156, v50, 0x3f575c64, v118
	v_fma_f32 v118, 0x3f575c64, v50, -v118
	v_fmamk_f32 v157, v50, 0xbf27a4f4, v48
	v_fma_f32 v48, 0xbf27a4f4, v50, -v48
	v_fma_f32 v50, 0xbf27a4f4, v54, -v121
	v_fmac_f32_e32 v121, 0xbf27a4f4, v54
	v_fma_f32 v158, 0xbe11bafb, v54, -v119
	v_fmac_f32_e32 v119, 0xbe11bafb, v54
	v_fma_f32 v159, 0x3f575c64, v54, -v120
	v_fmac_f32_e32 v120, 0x3f575c64, v54
	v_fma_f32 v160, 0xbf75a155, v54, -v122
	v_fmac_f32_e32 v122, 0xbf75a155, v54
	v_fma_f32 v161, 0x3ed4b147, v54, -v52
	v_fmac_f32_e32 v52, 0x3ed4b147, v54
	v_fmamk_f32 v54, v58, 0xbf27a4f4, v125
	v_fma_f32 v125, 0xbf27a4f4, v58, -v125
	v_fmamk_f32 v162, v58, 0xbe11bafb, v123
	v_fma_f32 v123, 0xbe11bafb, v58, -v123
	v_fmamk_f32 v163, v58, 0x3f575c64, v124
	v_fma_f32 v124, 0x3f575c64, v58, -v124
	v_fmamk_f32 v164, v58, 0xbf75a155, v126
	v_fma_f32 v126, 0xbf75a155, v58, -v126
	;; [unrolled: 20-line block ×3, first 2 shown]
	v_fmamk_f32 v173, v96, 0xbe11bafb, v95
	v_fma_f32 v95, 0xbe11bafb, v96, -v95
	v_add_f32_e32 v96, v36, v135
	v_add_f32_e32 v22, v37, v22
	;; [unrolled: 1-line block ×112, first 2 shown]
	ds_write2_b64 v92, v[20:21], v[22:23] offset0:22 offset1:33
	v_add_f32_e32 v20, v46, v42
	v_add_f32_e32 v21, v43, v94
	ds_write2_b64 v92, v[32:33], v[36:37] offset0:44 offset1:55
	ds_write2_b64 v92, v[38:39], v[34:35] offset0:66 offset1:77
	;; [unrolled: 1-line block ×3, first 2 shown]
	ds_write_b64 v92, v[26:27] offset:880
	ds_write2_b64 v92, v[20:21], v[24:25] offset1:11
	s_waitcnt lgkmcnt(0)
	s_barrier
	buffer_gl0_inv
	s_clause 0x4
	global_load_dwordx4 v[36:39], v[40:41], off offset:880
	global_load_dwordx4 v[32:35], v[40:41], off offset:896
	;; [unrolled: 1-line block ×5, first 2 shown]
	ds_read2_b64 v[93:96], v90 offset0:114 offset1:235
	ds_read2_b64 v[97:100], v89 offset0:100 offset1:221
	;; [unrolled: 1-line block ×4, first 2 shown]
	ds_read_b64 v[83:84], v86 offset:9680
	ds_read2_b64 v[40:43], v86 offset1:121
	s_waitcnt vmcnt(4) lgkmcnt(0)
	v_mul_f32_e32 v115, v42, v37
	v_mul_f32_e32 v116, v43, v37
	;; [unrolled: 1-line block ×4, first 2 shown]
	s_waitcnt vmcnt(0)
	v_mul_f32_e32 v114, v84, v23
	v_mul_f32_e32 v46, v83, v23
	;; [unrolled: 1-line block ×6, first 2 shown]
	v_fmac_f32_e32 v46, v84, v22
	v_fmac_f32_e32 v115, v43, v36
	v_fma_f32 v43, v83, v22, -v114
	v_fma_f32 v83, v42, v36, -v116
	v_mul_f32_e32 v52, v96, v33
	v_mul_f32_e32 v58, v95, v33
	;; [unrolled: 1-line block ×10, first 2 shown]
	v_fma_f32 v117, v93, v38, -v50
	v_fmac_f32_e32 v109, v94, v38
	v_fma_f32 v50, v105, v26, -v112
	v_fmac_f32_e32 v48, v106, v26
	;; [unrolled: 2-line block ×3, first 2 shown]
	v_sub_f32_e32 v84, v115, v46
	v_sub_f32_e32 v93, v83, v43
	v_add_f32_e32 v105, v40, v83
	v_add_f32_e32 v106, v41, v115
	v_fma_f32 v59, v95, v32, -v52
	v_fmac_f32_e32 v58, v96, v32
	v_fma_f32 v57, v97, v34, -v53
	v_fmac_f32_e32 v56, v98, v34
	;; [unrolled: 2-line block ×5, first 2 shown]
	v_add_f32_e32 v95, v83, v43
	v_add_f32_e32 v97, v115, v46
	v_sub_f32_e32 v107, v109, v47
	v_add_f32_e32 v101, v117, v42
	v_sub_f32_e32 v108, v117, v42
	v_mul_f32_e32 v121, 0xbf0a6770, v84
	v_mul_f32_e32 v122, 0xbf68dda4, v84
	;; [unrolled: 1-line block ×3, first 2 shown]
	v_add_f32_e32 v117, v105, v117
	v_add_f32_e32 v106, v106, v109
	;; [unrolled: 1-line block ×3, first 2 shown]
	v_sub_f32_e32 v110, v58, v48
	v_add_f32_e32 v104, v59, v50
	v_sub_f32_e32 v111, v59, v50
	v_add_f32_e32 v103, v58, v48
	v_sub_f32_e32 v112, v56, v49
	v_sub_f32_e32 v114, v57, v52
	;; [unrolled: 1-line block ×4, first 2 shown]
	v_mul_f32_e32 v123, 0xbf7d64f0, v84
	v_mul_f32_e32 v124, 0xbf4178ce, v84
	;; [unrolled: 1-line block ×10, first 2 shown]
	v_fma_f32 v153, 0x3f575c64, v95, -v121
	v_fma_f32 v154, 0x3ed4b147, v95, -v122
	v_fmamk_f32 v158, v97, 0x3ed4b147, v127
	v_add_f32_e32 v59, v117, v59
	v_add_f32_e32 v58, v106, v58
	;; [unrolled: 1-line block ×6, first 2 shown]
	v_mul_f32_e32 v131, 0xbf68dda4, v108
	v_mul_f32_e32 v93, 0xbf7d64f0, v110
	;; [unrolled: 1-line block ×37, first 2 shown]
	v_fmac_f32_e32 v121, 0x3f575c64, v95
	v_fmac_f32_e32 v122, 0x3ed4b147, v95
	v_fma_f32 v155, 0xbe11bafb, v95, -v123
	v_fmac_f32_e32 v123, 0xbe11bafb, v95
	v_fma_f32 v156, 0xbf27a4f4, v95, -v124
	;; [unrolled: 2-line block ×3, first 2 shown]
	v_fmac_f32_e32 v125, 0xbf75a155, v95
	v_fmamk_f32 v95, v97, 0x3f575c64, v126
	v_fma_f32 v126, 0x3f575c64, v97, -v126
	v_fma_f32 v127, 0x3ed4b147, v97, -v127
	v_fmamk_f32 v159, v97, 0xbe11bafb, v128
	v_fma_f32 v128, 0xbe11bafb, v97, -v128
	v_fmamk_f32 v160, v97, 0xbf27a4f4, v129
	v_fma_f32 v129, 0xbf27a4f4, v97, -v129
	v_fmamk_f32 v161, v97, 0xbf75a155, v130
	v_fma_f32 v97, 0xbf75a155, v97, -v130
	v_fma_f32 v130, 0x3ed4b147, v101, -v94
	;; [unrolled: 1-line block ×3, first 2 shown]
	v_fmamk_f32 v169, v100, 0xbf27a4f4, v135
	v_add_f32_e32 v153, v40, v153
	v_add_f32_e32 v154, v40, v154
	v_add_f32_e32 v158, v41, v158
	v_add_f32_e32 v59, v59, v57
	v_add_f32_e32 v58, v58, v56
	v_fmamk_f32 v162, v100, 0x3ed4b147, v131
	v_fma_f32 v163, 0xbe11bafb, v104, -v93
	v_fmamk_f32 v164, v103, 0xbe11bafb, v132
	v_fma_f32 v165, 0xbf27a4f4, v113, -v84
	v_fmamk_f32 v166, v115, 0xbf27a4f4, v133
	v_fma_f32 v167, 0xbf75a155, v118, -v83
	v_fma_f32 v170, 0xbf75a155, v104, -v99
	v_fmamk_f32 v171, v103, 0xbf75a155, v136
	v_fma_f32 v172, 0xbe11bafb, v113, -v98
	v_fmamk_f32 v173, v115, 0xbe11bafb, v137
	v_fma_f32 v106, 0xbe11bafb, v101, -v105
	v_fmac_f32_e32 v105, 0xbe11bafb, v101
	v_fma_f32 v117, 0x3f575c64, v101, -v109
	v_fmac_f32_e32 v109, 0x3f575c64, v101
	v_fmac_f32_e32 v102, 0xbf27a4f4, v101
	v_fma_f32 v174, 0xbf75a155, v101, -v107
	v_fmac_f32_e32 v107, 0xbf75a155, v101
	v_fmac_f32_e32 v94, 0x3ed4b147, v101
	v_fmamk_f32 v101, v100, 0xbe11bafb, v139
	v_fma_f32 v139, 0xbe11bafb, v100, -v139
	v_fmamk_f32 v175, v100, 0x3f575c64, v140
	v_fma_f32 v140, 0x3f575c64, v100, -v140
	v_fma_f32 v135, 0xbf27a4f4, v100, -v135
	v_fmamk_f32 v176, v100, 0xbf75a155, v108
	v_fma_f32 v108, 0xbf75a155, v100, -v108
	v_fma_f32 v100, 0x3ed4b147, v100, -v131
	v_fma_f32 v131, 0x3f575c64, v104, -v141
	v_fmac_f32_e32 v141, 0x3f575c64, v104
	v_fma_f32 v177, 0xbf27a4f4, v104, -v142
	v_fmac_f32_e32 v142, 0xbf27a4f4, v104
	v_fmac_f32_e32 v99, 0xbf75a155, v104
	v_fma_f32 v178, 0x3ed4b147, v104, -v110
	v_fmac_f32_e32 v110, 0x3ed4b147, v104
	v_fmac_f32_e32 v93, 0xbe11bafb, v104
	v_fmamk_f32 v104, v103, 0x3f575c64, v143
	v_fma_f32 v143, 0x3f575c64, v103, -v143
	v_fmamk_f32 v179, v103, 0xbf27a4f4, v144
	v_fma_f32 v144, 0xbf27a4f4, v103, -v144
	v_fma_f32 v136, 0xbf75a155, v103, -v136
	v_fmamk_f32 v180, v103, 0x3ed4b147, v111
	v_fma_f32 v111, 0x3ed4b147, v103, -v111
	v_fma_f32 v103, 0xbe11bafb, v103, -v132
	v_fma_f32 v132, 0xbf75a155, v113, -v145
	v_fmac_f32_e32 v145, 0xbf75a155, v113
	v_fma_f32 v181, 0x3ed4b147, v113, -v146
	v_fmac_f32_e32 v146, 0x3ed4b147, v113
	v_fmac_f32_e32 v98, 0xbe11bafb, v113
	v_fma_f32 v182, 0x3f575c64, v113, -v112
	v_fmac_f32_e32 v112, 0x3f575c64, v113
	v_fmac_f32_e32 v84, 0xbf27a4f4, v113
	v_fmamk_f32 v113, v115, 0xbf75a155, v147
	v_fma_f32 v147, 0xbf75a155, v115, -v147
	v_fmamk_f32 v183, v115, 0x3ed4b147, v148
	v_fma_f32 v148, 0x3ed4b147, v115, -v148
	v_fma_f32 v137, 0xbe11bafb, v115, -v137
	v_fmamk_f32 v184, v115, 0x3f575c64, v114
	v_fma_f32 v114, 0x3f575c64, v115, -v114
	v_fma_f32 v115, 0xbf27a4f4, v115, -v133
	v_fma_f32 v133, 0x3f575c64, v118, -v96
	v_add_f32_e32 v128, v41, v128
	v_fma_f32 v185, 0x3ed4b147, v118, -v149
	v_fmac_f32_e32 v149, 0x3ed4b147, v118
	v_fma_f32 v186, 0xbe11bafb, v118, -v150
	v_fmac_f32_e32 v150, 0xbe11bafb, v118
	v_fmac_f32_e32 v96, 0x3f575c64, v118
	v_fma_f32 v187, 0xbf27a4f4, v118, -v116
	v_fmac_f32_e32 v116, 0xbf27a4f4, v118
	v_fmac_f32_e32 v83, 0xbf75a155, v118
	v_fmamk_f32 v118, v120, 0x3ed4b147, v151
	v_fma_f32 v151, 0x3ed4b147, v120, -v151
	v_fmamk_f32 v188, v120, 0xbe11bafb, v152
	v_fma_f32 v152, 0xbe11bafb, v120, -v152
	;; [unrolled: 2-line block ×5, first 2 shown]
	v_add_f32_e32 v130, v130, v153
	v_add_f32_e32 v134, v168, v154
	v_add_f32_e32 v153, v169, v158
	v_add_f32_e32 v154, v59, v55
	v_add_f32_e32 v158, v58, v54
	v_add_f32_e32 v95, v41, v95
	v_add_f32_e32 v108, v108, v128
	v_add_f32_e32 v155, v40, v155
	v_add_f32_e32 v53, v154, v53
	v_add_f32_e32 v51, v158, v51
	v_add_f32_e32 v159, v41, v159
	v_add_f32_e32 v156, v40, v156
	v_add_f32_e32 v160, v41, v160
	v_add_f32_e32 v157, v40, v157
	v_add_f32_e32 v161, v41, v161
	v_add_f32_e32 v124, v40, v124
	v_add_f32_e32 v129, v41, v129
	v_add_f32_e32 v125, v40, v125
	v_add_f32_e32 v97, v41, v97
	v_add_f32_e32 v121, v40, v121
	v_add_f32_e32 v126, v41, v126
	v_add_f32_e32 v122, v40, v122
	v_add_f32_e32 v127, v41, v127
	v_add_f32_e32 v123, v40, v123
	v_add_f32_e32 v95, v162, v95
	v_add_f32_e32 v108, v111, v108
	v_add_f32_e32 v53, v53, v52
	v_add_f32_e32 v111, v51, v49
	v_add_f32_e32 v155, v174, v155
	v_add_f32_e32 v159, v176, v159
	v_add_f32_e32 v106, v106, v156
	v_add_f32_e32 v101, v101, v160
	v_add_f32_e32 v117, v117, v157
	v_add_f32_e32 v156, v175, v161
	v_add_f32_e32 v105, v105, v124
	v_add_f32_e32 v124, v139, v129
	v_add_f32_e32 v109, v109, v125
	v_add_f32_e32 v97, v140, v97
	v_add_f32_e32 v102, v102, v122
	v_add_f32_e32 v122, v135, v127
	v_add_f32_e32 v107, v107, v123
	v_add_f32_e32 v94, v94, v121
	v_add_f32_e32 v100, v100, v126
	v_add_f32_e32 v121, v163, v130
	v_add_f32_e32 v95, v164, v95
	v_add_f32_e32 v53, v53, v50
	v_add_f32_e32 v48, v111, v48
	v_add_f32_e32 v123, v170, v134
	v_add_f32_e32 v125, v171, v153
	v_add_f32_e32 v126, v178, v155
	v_add_f32_e32 v127, v180, v159
	v_add_f32_e32 v106, v131, v106
	v_add_f32_e32 v101, v104, v101
	v_add_f32_e32 v104, v177, v117
	v_add_f32_e32 v117, v179, v156
	v_add_co_u32 v40, vcc_lo, 0x2800, v44
	v_add_f32_e32 v105, v141, v105
	v_add_f32_e32 v124, v143, v124
	;; [unrolled: 1-line block ×9, first 2 shown]
	v_add_co_ci_u32_e32 v41, vcc_lo, 0, v45, vcc_lo
	v_add_f32_e32 v100, v165, v121
	v_add_f32_e32 v95, v166, v95
	;; [unrolled: 1-line block ×4, first 2 shown]
	v_add_co_u32 v56, vcc_lo, 0x2998, v44
	v_add_f32_e32 v103, v172, v123
	v_add_f32_e32 v110, v173, v125
	;; [unrolled: 1-line block ×8, first 2 shown]
	v_add_co_ci_u32_e32 v57, vcc_lo, 0, v45, vcc_lo
	v_add_f32_e32 v105, v145, v105
	v_add_f32_e32 v117, v147, v124
	;; [unrolled: 1-line block ×4, first 2 shown]
	v_add_co_u32 v54, vcc_lo, 0x3000, v44
	v_add_f32_e32 v123, v98, v99
	v_add_f32_e32 v124, v137, v102
	;; [unrolled: 1-line block ×10, first 2 shown]
	v_add_co_ci_u32_e32 v55, vcc_lo, 0, v45, vcc_lo
	v_add_f32_e32 v93, v133, v103
	v_add_f32_e32 v94, v189, v110
	;; [unrolled: 1-line block ×4, first 2 shown]
	v_add_co_u32 v58, vcc_lo, 0x3800, v44
	v_add_f32_e32 v97, v185, v106
	v_add_f32_e32 v98, v118, v101
	;; [unrolled: 1-line block ×8, first 2 shown]
	v_add_co_ci_u32_e32 v59, vcc_lo, 0, v45, vcc_lo
	v_add_f32_e32 v47, v96, v123
	v_add_f32_e32 v48, v138, v124
	v_add_f32_e32 v95, v116, v107
	v_add_f32_e32 v96, v119, v108
	v_add_f32_e32 v83, v83, v84
	v_add_f32_e32 v84, v120, v112
	ds_write2_b64 v86, v[42:43], v[51:52] offset1:121
	ds_write2_b64 v90, v[93:94], v[49:50] offset0:114 offset1:235
	ds_write2_b64 v89, v[97:98], v[99:100] offset0:100 offset1:221
	;; [unrolled: 1-line block ×4, first 2 shown]
	ds_write_b64 v86, v[83:84] offset:9680
	s_waitcnt lgkmcnt(0)
	s_barrier
	buffer_gl0_inv
	global_load_dwordx2 v[83:84], v[40:41], off offset:408
	v_add_co_u32 v40, vcc_lo, 0x4000, v44
	v_add_co_ci_u32_e32 v41, vcc_lo, 0, v45, vcc_lo
	v_add_co_u32 v42, vcc_lo, 0x4800, v44
	v_add_co_ci_u32_e32 v43, vcc_lo, 0, v45, vcc_lo
	s_clause 0x9
	global_load_dwordx2 v[93:94], v[56:57], off offset:968
	global_load_dwordx2 v[95:96], v[54:55], off offset:1264
	;; [unrolled: 1-line block ×10, first 2 shown]
	ds_read2_b64 v[40:43], v86 offset1:121
	ds_read2_b64 v[44:47], v90 offset0:114 offset1:235
	ds_read2_b64 v[48:51], v89 offset0:100 offset1:221
	;; [unrolled: 1-line block ×4, first 2 shown]
	ds_read_b64 v[113:114], v86 offset:9680
	s_waitcnt vmcnt(10) lgkmcnt(5)
	v_mul_f32_e32 v115, v41, v84
	v_mul_f32_e32 v116, v40, v84
	s_waitcnt vmcnt(9)
	v_mul_f32_e32 v117, v43, v94
	v_mul_f32_e32 v84, v42, v94
	s_waitcnt vmcnt(7) lgkmcnt(4)
	v_mul_f32_e32 v118, v45, v98
	v_mul_f32_e32 v94, v44, v98
	;; [unrolled: 1-line block ×4, first 2 shown]
	s_waitcnt vmcnt(6) lgkmcnt(3)
	v_mul_f32_e32 v120, v49, v100
	v_mul_f32_e32 v96, v48, v100
	s_waitcnt vmcnt(5)
	v_mul_f32_e32 v121, v51, v102
	v_mul_f32_e32 v100, v50, v102
	s_waitcnt vmcnt(4) lgkmcnt(2)
	v_mul_f32_e32 v122, v53, v104
	v_mul_f32_e32 v102, v52, v104
	s_waitcnt vmcnt(3)
	v_mul_f32_e32 v123, v55, v106
	v_mul_f32_e32 v104, v54, v106
	;; [unrolled: 6-line block ×3, first 2 shown]
	s_waitcnt vmcnt(0) lgkmcnt(0)
	v_mul_f32_e32 v126, v114, v112
	v_mul_f32_e32 v110, v113, v112
	v_fma_f32 v115, v40, v83, -v115
	v_fmac_f32_e32 v116, v41, v83
	v_fma_f32 v83, v42, v93, -v117
	v_fmac_f32_e32 v84, v43, v93
	;; [unrolled: 2-line block ×11, first 2 shown]
	ds_write2_b64 v86, v[115:116], v[83:84] offset1:121
	ds_write2_b64 v90, v[93:94], v[97:98] offset0:114 offset1:235
	ds_write2_b64 v89, v[95:96], v[99:100] offset0:100 offset1:221
	;; [unrolled: 1-line block ×4, first 2 shown]
	ds_write_b64 v86, v[109:110] offset:9680
	s_waitcnt lgkmcnt(0)
	s_barrier
	buffer_gl0_inv
	ds_read2_b64 v[40:43], v86 offset1:121
	ds_read_b64 v[83:84], v86 offset:9680
	ds_read2_b64 v[48:51], v89 offset0:100 offset1:221
	ds_read2_b64 v[44:47], v88 offset0:86 offset1:207
	;; [unrolled: 1-line block ×4, first 2 shown]
	s_waitcnt lgkmcnt(0)
	s_barrier
	buffer_gl0_inv
	v_sub_f32_e32 v93, v43, v84
	v_add_f32_e32 v95, v83, v42
	v_add_f32_e32 v94, v84, v43
	v_sub_f32_e32 v96, v42, v83
	v_add_f32_e32 v42, v40, v42
	v_add_f32_e32 v43, v41, v43
	;; [unrolled: 1-line block ×7, first 2 shown]
	v_sub_f32_e32 v108, v53, v59
	v_add_f32_e32 v109, v56, v54
	v_add_f32_e32 v110, v57, v55
	v_sub_f32_e32 v111, v54, v56
	v_sub_f32_e32 v112, v55, v57
	v_mul_f32_e32 v113, 0xbf0a6770, v93
	v_mul_f32_e32 v114, 0xbf68dda4, v93
	;; [unrolled: 1-line block ×10, first 2 shown]
	v_add_f32_e32 v54, v123, v54
	v_add_f32_e32 v55, v124, v55
	;; [unrolled: 1-line block ×3, first 2 shown]
	v_sub_f32_e32 v99, v48, v46
	v_sub_f32_e32 v100, v49, v47
	;; [unrolled: 1-line block ×4, first 2 shown]
	v_add_f32_e32 v105, v58, v52
	v_sub_f32_e32 v107, v52, v58
	v_mul_f32_e32 v125, 0xbf4178ce, v108
	v_mul_f32_e32 v93, 0xbf27a4f4, v106
	;; [unrolled: 1-line block ×25, first 2 shown]
	v_fmamk_f32 v151, v95, 0x3f575c64, v113
	v_fma_f32 v113, 0x3f575c64, v95, -v113
	v_fmamk_f32 v152, v95, 0x3ed4b147, v114
	v_fma_f32 v114, 0x3ed4b147, v95, -v114
	;; [unrolled: 2-line block ×5, first 2 shown]
	v_fmamk_f32 v117, v96, 0x3f0a6770, v118
	v_fmac_f32_e32 v118, 0xbf0a6770, v96
	v_fmamk_f32 v156, v96, 0x3f68dda4, v119
	v_fmac_f32_e32 v119, 0xbf68dda4, v96
	v_fmamk_f32 v157, v96, 0x3f7d64f0, v120
	v_fmac_f32_e32 v120, 0xbf7d64f0, v96
	v_fmamk_f32 v158, v96, 0x3f4178ce, v121
	v_fmac_f32_e32 v121, 0xbf4178ce, v96
	v_fmamk_f32 v159, v96, 0x3e903f40, v122
	v_add_f32_e32 v48, v54, v48
	v_add_f32_e32 v49, v55, v49
	v_fmac_f32_e32 v122, 0xbe903f40, v96
	v_add_f32_e32 v101, v44, v50
	v_mul_f32_e32 v126, 0x3e903f40, v112
	v_mul_f32_e32 v127, 0x3f7d64f0, v100
	;; [unrolled: 1-line block ×15, first 2 shown]
	v_fmamk_f32 v96, v105, 0xbf27a4f4, v125
	v_fmamk_f32 v123, v107, 0x3f4178ce, v93
	;; [unrolled: 1-line block ×11, first 2 shown]
	v_fmac_f32_e32 v135, 0x3f7d64f0, v107
	v_fmamk_f32 v173, v107, 0xbf0a6770, v136
	v_fmac_f32_e32 v136, 0x3f0a6770, v107
	v_fmac_f32_e32 v93, 0xbf4178ce, v107
	v_fmac_f32_e32 v130, 0x3e903f40, v107
	v_fmamk_f32 v174, v107, 0x3f68dda4, v106
	v_fmac_f32_e32 v106, 0xbf68dda4, v107
	v_fmamk_f32 v107, v111, 0x3f0a6770, v137
	v_fmac_f32_e32 v137, 0xbf0a6770, v111
	v_fmamk_f32 v175, v111, 0x3f4178ce, v138
	v_fmac_f32_e32 v138, 0xbf4178ce, v111
	v_fmac_f32_e32 v52, 0x3e903f40, v111
	v_fmac_f32_e32 v132, 0x3f68dda4, v111
	v_fmamk_f32 v176, v111, 0x3f7d64f0, v110
	v_fmac_f32_e32 v110, 0xbf7d64f0, v111
	v_fmamk_f32 v111, v99, 0x3e903f40, v139
	;; [unrolled: 8-line block ×4, first 2 shown]
	v_fma_f32 v143, 0xbe11bafb, v105, -v143
	v_fmamk_f32 v181, v105, 0x3f575c64, v144
	v_fma_f32 v144, 0x3f575c64, v105, -v144
	v_fma_f32 v125, 0xbf27a4f4, v105, -v125
	;; [unrolled: 1-line block ×4, first 2 shown]
	v_fmamk_f32 v105, v105, 0x3ed4b147, v108
	v_add_f32_e32 v151, v40, v151
	v_add_f32_e32 v117, v41, v117
	;; [unrolled: 1-line block ×22, first 2 shown]
	v_fmamk_f32 v124, v109, 0xbf75a155, v126
	v_fmamk_f32 v161, v97, 0xbe11bafb, v127
	;; [unrolled: 1-line block ×6, first 2 shown]
	v_fma_f32 v145, 0x3f575c64, v109, -v145
	v_fmamk_f32 v183, v109, 0xbf27a4f4, v146
	v_fma_f32 v146, 0xbf27a4f4, v109, -v146
	v_fma_f32 v126, 0xbf75a155, v109, -v126
	v_fma_f32 v131, 0x3ed4b147, v109, -v131
	v_fma_f32 v184, 0xbe11bafb, v109, -v112
	v_fmamk_f32 v109, v109, 0xbe11bafb, v112
	v_fmamk_f32 v112, v101, 0xbf27a4f4, v134
	;; [unrolled: 1-line block ×3, first 2 shown]
	v_fma_f32 v122, 0xbf75a155, v97, -v147
	v_fmamk_f32 v147, v97, 0x3ed4b147, v148
	v_fma_f32 v148, 0x3ed4b147, v97, -v148
	v_fma_f32 v127, 0xbe11bafb, v97, -v127
	;; [unrolled: 1-line block ×4, first 2 shown]
	v_fmamk_f32 v97, v97, 0xbf27a4f4, v100
	v_fmamk_f32 v100, v101, 0x3ed4b147, v149
	v_fma_f32 v149, 0x3ed4b147, v101, -v149
	v_fmamk_f32 v186, v101, 0xbe11bafb, v150
	v_fma_f32 v150, 0xbe11bafb, v101, -v150
	v_fma_f32 v128, 0x3f575c64, v101, -v128
	;; [unrolled: 1-line block ×4, first 2 shown]
	v_fmamk_f32 v101, v101, 0xbf75a155, v104
	v_add_f32_e32 v50, v96, v152
	v_add_f32_e32 v51, v123, v156
	;; [unrolled: 1-line block ×88, first 2 shown]
	ds_write2_b64 v91, v[40:41], v[43:44] offset0:2 offset1:3
	v_add_f32_e32 v40, v42, v83
	v_add_f32_e32 v41, v53, v84
	ds_write2_b64 v91, v[45:46], v[47:48] offset0:4 offset1:5
	ds_write2_b64 v91, v[51:52], v[49:50] offset0:6 offset1:7
	;; [unrolled: 1-line block ×3, first 2 shown]
	ds_write_b64 v91, v[93:94] offset:80
	ds_write2_b64 v91, v[40:41], v[58:59] offset1:1
	s_waitcnt lgkmcnt(0)
	s_barrier
	buffer_gl0_inv
	ds_read_b64 v[83:84], v86 offset:9680
	ds_read2_b64 v[40:43], v87 offset0:72 offset1:193
	ds_read2_b64 v[44:47], v88 offset0:86 offset1:207
	;; [unrolled: 1-line block ×4, first 2 shown]
	ds_read2_b64 v[56:59], v86 offset1:121
	s_waitcnt lgkmcnt(0)
	s_barrier
	buffer_gl0_inv
	v_mul_f32_e32 v91, v19, v84
	v_mul_f32_e32 v19, v19, v83
	;; [unrolled: 1-line block ×11, first 2 shown]
	v_fmac_f32_e32 v1, v0, v58
	v_mul_f32_e32 v97, v9, v51
	v_mul_f32_e32 v9, v9, v50
	;; [unrolled: 1-line block ×5, first 2 shown]
	v_fmac_f32_e32 v91, v18, v83
	v_fma_f32 v18, v18, v84, -v19
	v_fmac_f32_e32 v93, v16, v42
	v_fma_f32 v16, v16, v43, -v17
	;; [unrolled: 2-line block ×3, first 2 shown]
	v_fma_f32 v7, v0, v59, -v101
	v_fmac_f32_e32 v100, v2, v52
	v_add_f32_e32 v17, v56, v1
	v_mul_f32_e32 v94, v15, v41
	v_mul_f32_e32 v15, v15, v40
	v_fmac_f32_e32 v95, v12, v46
	v_fma_f32 v12, v12, v47, -v13
	v_fmac_f32_e32 v97, v8, v50
	v_fma_f32 v8, v8, v51, -v9
	;; [unrolled: 2-line block ×3, first 2 shown]
	v_fma_f32 v5, v2, v53, -v3
	v_sub_f32_e32 v9, v7, v18
	v_add_f32_e32 v13, v7, v18
	v_add_f32_e32 v7, v57, v7
	;; [unrolled: 1-line block ×3, first 2 shown]
	v_fmac_f32_e32 v94, v14, v40
	v_fma_f32 v14, v14, v41, -v15
	v_add_f32_e32 v2, v5, v16
	v_sub_f32_e32 v3, v5, v16
	v_add_f32_e32 v5, v7, v5
	v_add_f32_e32 v17, v17, v99
	v_mul_f32_e32 v96, v11, v45
	v_mul_f32_e32 v11, v11, v44
	v_add_f32_e32 v42, v4, v14
	v_sub_f32_e32 v43, v4, v14
	v_add_f32_e32 v4, v5, v4
	v_add_f32_e32 v17, v17, v98
	v_fmac_f32_e32 v96, v10, v44
	v_fma_f32 v10, v10, v45, -v11
	v_add_f32_e32 v11, v1, v91
	v_mul_f32_e32 v19, 0xbf0a6770, v9
	v_add_f32_e32 v4, v4, v6
	v_add_f32_e32 v17, v17, v97
	v_sub_f32_e32 v15, v1, v91
	v_add_f32_e32 v0, v100, v93
	v_add_f32_e32 v50, v8, v10
	v_sub_f32_e32 v51, v8, v10
	v_mul_f32_e32 v52, 0xbf68dda4, v9
	v_mul_f32_e32 v53, 0xbf7d64f0, v9
	;; [unrolled: 1-line block ×6, first 2 shown]
	v_fmamk_f32 v106, v11, 0x3f575c64, v19
	v_add_f32_e32 v4, v4, v8
	v_add_f32_e32 v8, v17, v96
	v_sub_f32_e32 v1, v100, v93
	v_add_f32_e32 v40, v99, v94
	v_add_f32_e32 v46, v6, v12
	v_sub_f32_e32 v47, v6, v12
	v_mul_f32_e32 v58, 0x3ed4b147, v13
	v_mul_f32_e32 v59, 0xbe11bafb, v13
	;; [unrolled: 1-line block ×6, first 2 shown]
	v_fma_f32 v19, 0x3f575c64, v11, -v19
	v_fmamk_f32 v107, v11, 0x3ed4b147, v52
	v_fma_f32 v52, 0x3ed4b147, v11, -v52
	v_fmamk_f32 v108, v11, 0xbe11bafb, v53
	v_fma_f32 v53, 0xbe11bafb, v11, -v53
	v_fmamk_f32 v109, v11, 0xbf27a4f4, v54
	v_fma_f32 v54, 0xbf27a4f4, v11, -v54
	v_fmamk_f32 v110, v11, 0xbf75a155, v9
	v_fma_f32 v9, 0xbf75a155, v11, -v9
	v_fmamk_f32 v11, v15, 0x3f0a6770, v55
	v_fmamk_f32 v5, v0, 0x3ed4b147, v7
	v_add_f32_e32 v6, v56, v106
	v_add_f32_e32 v4, v4, v10
	v_add_f32_e32 v8, v8, v95
	v_sub_f32_e32 v41, v99, v94
	v_add_f32_e32 v44, v98, v95
	v_mul_f32_e32 v101, 0xbe11bafb, v42
	v_mul_f32_e32 v102, 0xbf4178ce, v47
	v_fmac_f32_e32 v55, 0xbf0a6770, v15
	v_fmamk_f32 v111, v15, 0x3f68dda4, v58
	v_fmac_f32_e32 v58, 0xbf68dda4, v15
	v_fmamk_f32 v112, v15, 0x3f7d64f0, v59
	;; [unrolled: 2-line block ×5, first 2 shown]
	v_fmamk_f32 v114, v40, 0xbe11bafb, v100
	v_add_f32_e32 v11, v57, v11
	v_add_f32_e32 v4, v4, v12
	;; [unrolled: 1-line block ×4, first 2 shown]
	v_sub_f32_e32 v45, v98, v95
	v_add_f32_e32 v48, v97, v96
	v_mul_f32_e32 v103, 0xbf27a4f4, v46
	v_mul_f32_e32 v104, 0xbe903f40, v51
	v_fmamk_f32 v115, v41, 0x3f7d64f0, v101
	v_fmamk_f32 v116, v44, 0xbf27a4f4, v102
	v_fma_f32 v7, 0x3ed4b147, v0, -v7
	v_add_f32_e32 v19, v56, v19
	v_add_f32_e32 v6, v15, v11
	;; [unrolled: 1-line block ×5, first 2 shown]
	v_sub_f32_e32 v49, v97, v96
	v_mul_f32_e32 v105, 0xbf75a155, v50
	v_fmamk_f32 v117, v45, 0x3f4178ce, v103
	v_fmamk_f32 v118, v48, 0xbf75a155, v104
	v_add_f32_e32 v55, v57, v55
	v_add_f32_e32 v98, v56, v107
	;; [unrolled: 1-line block ×13, first 2 shown]
	v_fmac_f32_e32 v84, 0xbf68dda4, v1
	v_add_f32_e32 v7, v7, v19
	v_fma_f32 v8, 0xbe11bafb, v40, -v100
	v_add_f32_e32 v106, v57, v111
	v_add_f32_e32 v58, v57, v58
	;; [unrolled: 1-line block ×11, first 2 shown]
	v_fmamk_f32 v9, v49, 0x3e903f40, v105
	v_add_f32_e32 v10, v84, v55
	v_fmac_f32_e32 v101, 0xbf7d64f0, v41
	v_add_f32_e32 v8, v8, v7
	v_fma_f32 v12, 0xbf27a4f4, v44, -v102
	v_mul_f32_e32 v13, 0xbf4178ce, v3
	v_add_f32_e32 v7, v9, v11
	v_add_f32_e32 v9, v101, v10
	v_mul_f32_e32 v11, 0xbf27a4f4, v2
	v_add_f32_e32 v8, v12, v8
	v_fmamk_f32 v10, v0, 0xbf27a4f4, v13
	v_mul_f32_e32 v12, 0x3e903f40, v43
	v_fma_f32 v14, 0xbf75a155, v48, -v104
	v_fmamk_f32 v15, v1, 0x3f4178ce, v11
	v_mul_f32_e32 v18, 0xbf75a155, v42
	v_add_f32_e32 v10, v10, v98
	v_fmamk_f32 v16, v40, 0xbf75a155, v12
	v_add_f32_e32 v8, v14, v8
	v_add_f32_e32 v15, v15, v106
	v_mul_f32_e32 v14, 0xbe11bafb, v46
	v_mul_f32_e32 v19, 0x3f7d64f0, v47
	v_add_f32_e32 v10, v16, v10
	v_fmamk_f32 v16, v41, 0xbe903f40, v18
	v_fma_f32 v13, 0xbf27a4f4, v0, -v13
	v_fmac_f32_e32 v11, 0xbf4178ce, v1
	v_mul_f32_e32 v84, 0x3f575c64, v50
	v_fmamk_f32 v55, v44, 0xbe11bafb, v19
	v_add_f32_e32 v15, v16, v15
	v_fmamk_f32 v16, v45, 0xbf7d64f0, v14
	v_add_f32_e32 v13, v13, v52
	v_add_f32_e32 v11, v11, v58
	v_fma_f32 v12, 0xbf75a155, v40, -v12
	v_fmac_f32_e32 v18, 0x3e903f40, v41
	v_add_f32_e32 v15, v16, v15
	v_fmamk_f32 v52, v49, 0xbf0a6770, v84
	v_add_f32_e32 v10, v55, v10
	v_mul_f32_e32 v55, 0x3f0a6770, v51
	v_add_f32_e32 v12, v12, v13
	v_add_f32_e32 v13, v18, v11
	v_fma_f32 v18, 0xbe11bafb, v44, -v19
	v_fmac_f32_e32 v14, 0x3f7d64f0, v45
	v_add_f32_e32 v11, v52, v15
	v_mul_f32_e32 v15, 0x3e903f40, v3
	v_fmamk_f32 v16, v48, 0x3f575c64, v55
	v_add_f32_e32 v12, v18, v12
	v_add_f32_e32 v13, v14, v13
	v_mul_f32_e32 v14, 0xbf75a155, v2
	v_fmamk_f32 v18, v0, 0xbf75a155, v15
	v_mul_f32_e32 v19, 0x3f68dda4, v43
	v_add_f32_e32 v10, v16, v10
	v_fma_f32 v16, 0x3f575c64, v48, -v55
	v_fmac_f32_e32 v84, 0x3f0a6770, v49
	v_fmamk_f32 v52, v1, 0xbe903f40, v14
	v_mul_f32_e32 v55, 0x3ed4b147, v42
	v_add_f32_e32 v18, v18, v107
	v_fmamk_f32 v58, v40, 0x3ed4b147, v19
	v_mul_f32_e32 v91, 0xbf0a6770, v47
	v_add_f32_e32 v52, v52, v108
	v_fmamk_f32 v93, v41, 0xbf68dda4, v55
	v_add_f32_e32 v12, v16, v12
	v_add_f32_e32 v16, v58, v18
	v_fmamk_f32 v18, v44, 0x3f575c64, v91
	v_add_f32_e32 v13, v84, v13
	v_mul_f32_e32 v58, 0x3f575c64, v46
	v_mul_f32_e32 v84, 0xbf4178ce, v51
	v_add_f32_e32 v52, v93, v52
	v_add_f32_e32 v16, v18, v16
	v_fma_f32 v15, 0xbf75a155, v0, -v15
	v_fmac_f32_e32 v14, 0x3e903f40, v1
	v_fmamk_f32 v18, v45, 0x3f0a6770, v58
	v_fmamk_f32 v93, v48, 0xbf27a4f4, v84
	v_mul_f32_e32 v94, 0xbf27a4f4, v50
	v_add_f32_e32 v15, v15, v53
	v_add_f32_e32 v53, v14, v59
	v_fma_f32 v19, 0x3ed4b147, v40, -v19
	v_fmac_f32_e32 v55, 0x3f68dda4, v41
	v_add_f32_e32 v18, v18, v52
	v_add_f32_e32 v14, v93, v16
	v_fmamk_f32 v16, v49, 0x3f4178ce, v94
	v_add_f32_e32 v19, v19, v15
	v_add_f32_e32 v52, v55, v53
	v_fma_f32 v53, 0x3f575c64, v44, -v91
	v_fmac_f32_e32 v58, 0xbf0a6770, v45
	v_add_f32_e32 v15, v16, v18
	v_mul_f32_e32 v18, 0x3f7d64f0, v3
	v_mul_f32_e32 v55, 0xbe11bafb, v2
	v_add_f32_e32 v16, v53, v19
	v_add_f32_e32 v19, v58, v52
	v_fma_f32 v52, 0xbf27a4f4, v48, -v84
	v_fmamk_f32 v53, v0, 0xbe11bafb, v18
	v_fmamk_f32 v58, v1, 0xbf7d64f0, v55
	v_mul_f32_e32 v59, 0xbf0a6770, v43
	v_mul_f32_e32 v84, 0x3f575c64, v42
	;; [unrolled: 1-line block ×3, first 2 shown]
	v_add_f32_e32 v53, v53, v97
	v_add_f32_e32 v17, v58, v17
	v_fmamk_f32 v58, v40, 0x3f575c64, v59
	v_fmamk_f32 v93, v41, 0x3f0a6770, v84
	v_mul_f32_e32 v97, 0xbf75a155, v46
	v_fmac_f32_e32 v94, 0xbf4178ce, v49
	v_add_f32_e32 v16, v52, v16
	v_add_f32_e32 v52, v58, v53
	v_fmamk_f32 v53, v44, 0xbf75a155, v91
	v_add_f32_e32 v58, v93, v17
	v_fmamk_f32 v93, v45, 0x3e903f40, v97
	v_mul_f32_e32 v98, 0x3f68dda4, v51
	v_fma_f32 v18, 0xbe11bafb, v0, -v18
	v_add_f32_e32 v17, v94, v19
	v_add_f32_e32 v19, v53, v52
	;; [unrolled: 1-line block ×3, first 2 shown]
	v_fmamk_f32 v53, v48, 0x3ed4b147, v98
	v_mul_f32_e32 v58, 0x3ed4b147, v50
	v_fmac_f32_e32 v55, 0x3f7d64f0, v1
	v_add_f32_e32 v54, v18, v54
	v_fma_f32 v59, 0x3f575c64, v40, -v59
	v_add_f32_e32 v18, v53, v19
	v_fmamk_f32 v19, v49, 0xbf68dda4, v58
	v_add_f32_e32 v53, v55, v83
	v_fmac_f32_e32 v84, 0xbf0a6770, v41
	v_add_f32_e32 v54, v59, v54
	v_fma_f32 v55, 0xbf75a155, v44, -v91
	v_mul_f32_e32 v3, 0x3f0a6770, v3
	v_add_f32_e32 v19, v19, v52
	v_add_f32_e32 v52, v84, v53
	v_mul_f32_e32 v43, 0xbf4178ce, v43
	v_add_f32_e32 v53, v55, v54
	v_fmamk_f32 v54, v0, 0x3f575c64, v3
	v_mul_f32_e32 v55, 0x3f575c64, v2
	v_mul_f32_e32 v42, 0xbf27a4f4, v42
	v_fmamk_f32 v83, v40, 0xbf27a4f4, v43
	v_fma_f32 v0, 0x3f575c64, v0, -v3
	v_add_f32_e32 v54, v54, v96
	v_fmamk_f32 v59, v1, 0xbf0a6770, v55
	v_fmac_f32_e32 v55, 0x3f0a6770, v1
	v_mul_f32_e32 v47, 0x3f68dda4, v47
	v_mul_f32_e32 v3, 0x3ed4b147, v46
	v_add_f32_e32 v54, v83, v54
	v_add_f32_e32 v59, v59, v95
	v_fmamk_f32 v83, v41, 0x3f4178ce, v42
	v_add_f32_e32 v0, v0, v56
	v_add_f32_e32 v46, v55, v57
	v_fma_f32 v40, 0xbf27a4f4, v40, -v43
	v_fmac_f32_e32 v42, 0xbf4178ce, v41
	v_fma_f32 v2, 0x3ed4b147, v48, -v98
	v_fmamk_f32 v84, v44, 0x3ed4b147, v47
	v_add_f32_e32 v1, v83, v59
	v_fmamk_f32 v41, v45, 0xbf68dda4, v3
	v_mul_f32_e32 v43, 0xbf7d64f0, v51
	v_mul_f32_e32 v50, 0xbe11bafb, v50
	v_fmac_f32_e32 v97, 0xbe903f40, v45
	v_add_f32_e32 v0, v40, v0
	v_add_f32_e32 v40, v42, v46
	v_fma_f32 v42, 0x3ed4b147, v44, -v47
	v_fmac_f32_e32 v3, 0x3f68dda4, v45
	v_fmac_f32_e32 v103, 0xbf4178ce, v45
	v_add_f32_e32 v2, v2, v53
	v_add_f32_e32 v53, v84, v54
	;; [unrolled: 1-line block ×3, first 2 shown]
	v_fmamk_f32 v41, v48, 0xbe11bafb, v43
	v_fmamk_f32 v44, v49, 0x3f7d64f0, v50
	v_add_f32_e32 v52, v97, v52
	v_fmac_f32_e32 v58, 0x3f68dda4, v49
	v_add_f32_e32 v42, v42, v0
	v_add_f32_e32 v45, v3, v40
	v_fma_f32 v40, 0xbe11bafb, v48, -v43
	v_fmac_f32_e32 v50, 0xbf7d64f0, v49
	v_add_f32_e32 v9, v103, v9
	v_fmac_f32_e32 v105, 0xbe903f40, v49
	v_add_f32_e32 v0, v41, v53
	v_add_f32_e32 v1, v44, v1
	;; [unrolled: 1-line block ×6, first 2 shown]
	ds_write2_b64 v92, v[4:5], v[6:7] offset1:11
	ds_write2_b64 v92, v[10:11], v[14:15] offset0:22 offset1:33
	ds_write2_b64 v92, v[18:19], v[0:1] offset0:44 offset1:55
	;; [unrolled: 1-line block ×4, first 2 shown]
	ds_write_b64 v92, v[8:9] offset:880
	s_waitcnt lgkmcnt(0)
	s_barrier
	buffer_gl0_inv
	ds_read2_b64 v[0:3], v86 offset1:121
	ds_read2_b64 v[4:7], v90 offset0:114 offset1:235
	ds_read2_b64 v[8:11], v89 offset0:100 offset1:221
	;; [unrolled: 1-line block ×4, first 2 shown]
	s_waitcnt lgkmcnt(4)
	v_mul_f32_e32 v40, v37, v3
	v_mul_f32_e32 v37, v37, v2
	s_waitcnt lgkmcnt(3)
	v_mul_f32_e32 v41, v39, v5
	v_fmac_f32_e32 v40, v36, v2
	v_mul_f32_e32 v2, v39, v4
	v_mul_f32_e32 v39, v33, v7
	v_fma_f32 v36, v36, v3, -v37
	v_mul_f32_e32 v3, v33, v6
	v_fmac_f32_e32 v41, v38, v4
	v_fma_f32 v4, v38, v5, -v2
	v_fmac_f32_e32 v39, v32, v6
	s_waitcnt lgkmcnt(2)
	v_mul_f32_e32 v5, v35, v9
	v_fma_f32 v7, v32, v7, -v3
	v_mul_f32_e32 v32, v29, v11
	v_mul_f32_e32 v6, v35, v8
	ds_read_b64 v[2:3], v86 offset:9680
	v_fmac_f32_e32 v5, v34, v8
	v_mul_f32_e32 v8, v29, v10
	v_fmac_f32_e32 v32, v28, v10
	v_add_f32_e32 v10, v0, v40
	v_fma_f32 v6, v34, v9, -v6
	s_waitcnt lgkmcnt(2)
	v_mul_f32_e32 v9, v31, v13
	v_add_f32_e32 v29, v1, v36
	v_fma_f32 v8, v28, v11, -v8
	v_add_f32_e32 v10, v10, v41
	v_mul_f32_e32 v11, v31, v12
	v_fmac_f32_e32 v9, v30, v12
	v_add_f32_e32 v12, v29, v4
	v_mul_f32_e32 v28, v25, v15
	v_add_f32_e32 v10, v10, v39
	v_fma_f32 v11, v30, v13, -v11
	v_mul_f32_e32 v13, v25, v14
	v_add_f32_e32 v12, v12, v7
	v_fmac_f32_e32 v28, v24, v14
	v_add_f32_e32 v10, v10, v5
	s_waitcnt lgkmcnt(1)
	v_mul_f32_e32 v14, v27, v17
	v_fma_f32 v13, v24, v15, -v13
	v_add_f32_e32 v12, v12, v6
	v_mul_f32_e32 v15, v27, v16
	v_add_f32_e32 v10, v10, v32
	v_fmac_f32_e32 v14, v26, v16
	v_mul_f32_e32 v16, v21, v19
	v_add_f32_e32 v12, v12, v8
	v_fma_f32 v15, v26, v17, -v15
	s_waitcnt lgkmcnt(0)
	v_mul_f32_e32 v17, v23, v2
	v_add_f32_e32 v10, v10, v9
	v_mul_f32_e32 v23, v23, v3
	v_add_f32_e32 v12, v12, v11
	v_fmac_f32_e32 v16, v20, v18
	v_fma_f32 v3, v22, v3, -v17
	v_add_f32_e32 v10, v10, v28
	v_mul_f32_e32 v17, v21, v18
	v_add_f32_e32 v12, v12, v13
	v_fmac_f32_e32 v23, v22, v2
	v_sub_f32_e32 v18, v36, v3
	v_add_f32_e32 v2, v10, v14
	v_fma_f32 v17, v20, v19, -v17
	v_add_f32_e32 v10, v12, v15
	v_add_f32_e32 v12, v40, v23
	v_mul_f32_e32 v19, 0xbf0a6770, v18
	v_add_f32_e32 v20, v36, v3
	v_add_f32_e32 v2, v2, v16
	v_add_f32_e32 v10, v10, v17
	v_sub_f32_e32 v21, v40, v23
	v_fmamk_f32 v22, v12, 0x3f575c64, v19
	v_mul_f32_e32 v24, 0x3f575c64, v20
	v_add_f32_e32 v2, v2, v23
	v_mul_f32_e32 v23, 0xbf68dda4, v18
	v_mul_f32_e32 v25, 0x3ed4b147, v20
	;; [unrolled: 1-line block ×8, first 2 shown]
	v_sub_f32_e32 v42, v4, v17
	v_add_f32_e32 v4, v4, v17
	v_add_f32_e32 v3, v10, v3
	;; [unrolled: 1-line block ×3, first 2 shown]
	v_fmamk_f32 v22, v21, 0x3f0a6770, v24
	v_fma_f32 v19, 0x3f575c64, v12, -v19
	v_fmac_f32_e32 v24, 0xbf0a6770, v21
	v_fmamk_f32 v26, v12, 0x3ed4b147, v23
	v_fmamk_f32 v27, v21, 0x3f68dda4, v25
	v_fma_f32 v23, 0x3ed4b147, v12, -v23
	v_fmac_f32_e32 v25, 0xbf68dda4, v21
	v_fmamk_f32 v30, v12, 0xbe11bafb, v29
	;; [unrolled: 4-line block ×4, first 2 shown]
	v_fmamk_f32 v40, v21, 0x3e903f40, v20
	v_add_f32_e32 v43, v41, v16
	v_mul_f32_e32 v17, 0xbf68dda4, v42
	v_fma_f32 v12, 0xbf75a155, v12, -v18
	v_fmac_f32_e32 v20, 0xbe903f40, v21
	v_sub_f32_e32 v16, v41, v16
	v_mul_f32_e32 v18, 0x3ed4b147, v4
	v_add_f32_e32 v22, v1, v22
	v_add_f32_e32 v19, v0, v19
	;; [unrolled: 1-line block ×17, first 2 shown]
	v_fmamk_f32 v21, v43, 0x3ed4b147, v17
	v_add_f32_e32 v0, v0, v12
	v_add_f32_e32 v1, v1, v20
	v_mul_f32_e32 v12, 0xbf4178ce, v42
	v_fmamk_f32 v20, v16, 0x3f68dda4, v18
	v_add_f32_e32 v10, v21, v10
	v_fma_f32 v17, 0x3ed4b147, v43, -v17
	v_fmac_f32_e32 v18, 0xbf68dda4, v16
	v_fmamk_f32 v21, v43, 0xbf27a4f4, v12
	v_add_f32_e32 v20, v20, v22
	v_mul_f32_e32 v22, 0xbf27a4f4, v4
	v_add_f32_e32 v17, v17, v19
	v_add_f32_e32 v18, v18, v24
	;; [unrolled: 1-line block ×3, first 2 shown]
	v_mul_f32_e32 v21, 0x3e903f40, v42
	v_fmamk_f32 v24, v16, 0x3f4178ce, v22
	v_fma_f32 v12, 0xbf27a4f4, v43, -v12
	v_mul_f32_e32 v26, 0xbf75a155, v4
	v_fmac_f32_e32 v22, 0xbf4178ce, v16
	v_fmamk_f32 v41, v43, 0xbf75a155, v21
	v_add_f32_e32 v24, v24, v27
	v_add_f32_e32 v12, v12, v23
	v_fmamk_f32 v23, v16, 0xbe903f40, v26
	v_mul_f32_e32 v27, 0x3f7d64f0, v42
	v_fma_f32 v21, 0xbf75a155, v43, -v21
	v_add_f32_e32 v22, v22, v25
	v_add_f32_e32 v25, v41, v30
	;; [unrolled: 1-line block ×3, first 2 shown]
	v_fmamk_f32 v34, v43, 0xbe11bafb, v27
	v_add_f32_e32 v21, v21, v29
	v_mul_f32_e32 v29, 0x3f0a6770, v42
	v_fmac_f32_e32 v26, 0x3e903f40, v16
	v_mul_f32_e32 v30, 0xbe11bafb, v4
	v_add_f32_e32 v34, v34, v35
	v_fma_f32 v27, 0xbe11bafb, v43, -v27
	v_fmamk_f32 v35, v43, 0x3f575c64, v29
	v_add_f32_e32 v26, v26, v31
	v_fmamk_f32 v31, v16, 0xbf7d64f0, v30
	v_fmac_f32_e32 v30, 0x3f7d64f0, v16
	v_mul_f32_e32 v4, 0x3f575c64, v4
	v_add_f32_e32 v27, v27, v33
	v_add_f32_e32 v33, v35, v38
	v_sub_f32_e32 v35, v7, v15
	v_add_f32_e32 v7, v7, v15
	v_add_f32_e32 v31, v31, v37
	;; [unrolled: 1-line block ×3, first 2 shown]
	v_fmamk_f32 v36, v16, 0xbf0a6770, v4
	v_fma_f32 v29, 0x3f575c64, v43, -v29
	v_add_f32_e32 v15, v39, v14
	v_mul_f32_e32 v37, 0xbf7d64f0, v35
	v_fmac_f32_e32 v4, 0x3f0a6770, v16
	v_sub_f32_e32 v14, v39, v14
	v_mul_f32_e32 v16, 0xbe11bafb, v7
	v_add_f32_e32 v0, v29, v0
	v_fmamk_f32 v38, v15, 0xbe11bafb, v37
	v_add_f32_e32 v1, v4, v1
	v_mul_f32_e32 v29, 0x3e903f40, v35
	v_fmamk_f32 v4, v14, 0x3f7d64f0, v16
	v_fmac_f32_e32 v16, 0xbf7d64f0, v14
	v_add_f32_e32 v10, v38, v10
	v_fma_f32 v37, 0xbe11bafb, v15, -v37
	v_mul_f32_e32 v38, 0xbf75a155, v7
	v_add_f32_e32 v4, v4, v20
	v_fmamk_f32 v20, v15, 0xbf75a155, v29
	v_add_f32_e32 v16, v16, v18
	v_mul_f32_e32 v18, 0x3f68dda4, v35
	v_add_f32_e32 v17, v37, v17
	v_fma_f32 v29, 0xbf75a155, v15, -v29
	v_add_f32_e32 v19, v20, v19
	v_fmamk_f32 v20, v14, 0xbe903f40, v38
	v_fmamk_f32 v37, v15, 0x3ed4b147, v18
	v_mul_f32_e32 v39, 0x3ed4b147, v7
	v_add_f32_e32 v12, v29, v12
	v_mul_f32_e32 v29, 0xbf0a6770, v35
	v_add_f32_e32 v20, v20, v24
	v_add_f32_e32 v24, v37, v25
	v_fmamk_f32 v25, v14, 0xbf68dda4, v39
	v_fma_f32 v18, 0x3ed4b147, v15, -v18
	v_fmac_f32_e32 v39, 0x3f68dda4, v14
	v_mul_f32_e32 v37, 0x3f575c64, v7
	v_mul_f32_e32 v35, 0xbf4178ce, v35
	v_add_f32_e32 v23, v25, v23
	v_fmamk_f32 v25, v15, 0x3f575c64, v29
	v_add_f32_e32 v18, v18, v21
	v_add_f32_e32 v21, v39, v26
	v_fmamk_f32 v26, v14, 0x3f0a6770, v37
	v_fma_f32 v29, 0x3f575c64, v15, -v29
	v_fmac_f32_e32 v37, 0xbf0a6770, v14
	v_mul_f32_e32 v7, 0xbf27a4f4, v7
	v_fmac_f32_e32 v38, 0x3e903f40, v14
	v_add_f32_e32 v26, v26, v31
	v_fmamk_f32 v31, v15, 0xbf27a4f4, v35
	v_add_f32_e32 v27, v29, v27
	v_add_f32_e32 v29, v37, v30
	v_sub_f32_e32 v30, v6, v13
	v_add_f32_e32 v6, v6, v13
	v_add_f32_e32 v25, v25, v34
	;; [unrolled: 1-line block ×3, first 2 shown]
	v_fmamk_f32 v33, v14, 0x3f4178ce, v7
	v_add_f32_e32 v34, v5, v28
	v_fmac_f32_e32 v7, 0xbf4178ce, v14
	v_sub_f32_e32 v5, v5, v28
	v_mul_f32_e32 v14, 0xbf27a4f4, v6
	v_mul_f32_e32 v13, 0xbf4178ce, v30
	v_fma_f32 v15, 0xbf27a4f4, v15, -v35
	v_add_f32_e32 v1, v7, v1
	v_add_f32_e32 v22, v38, v22
	v_fmamk_f32 v7, v5, 0x3f4178ce, v14
	v_fmamk_f32 v28, v34, 0xbf27a4f4, v13
	v_add_f32_e32 v0, v15, v0
	v_mul_f32_e32 v15, 0x3f7d64f0, v30
	v_fma_f32 v13, 0xbf27a4f4, v34, -v13
	v_fmac_f32_e32 v14, 0xbf4178ce, v5
	v_add_f32_e32 v4, v7, v4
	v_mul_f32_e32 v7, 0xbe11bafb, v6
	v_add_f32_e32 v10, v28, v10
	v_fmamk_f32 v28, v34, 0xbe11bafb, v15
	v_add_f32_e32 v13, v13, v17
	v_add_f32_e32 v14, v14, v16
	v_mul_f32_e32 v16, 0xbf0a6770, v30
	v_fmamk_f32 v17, v5, 0xbf7d64f0, v7
	v_add_f32_e32 v19, v28, v19
	v_fma_f32 v15, 0xbe11bafb, v34, -v15
	v_fmac_f32_e32 v7, 0x3f7d64f0, v5
	v_fmamk_f32 v28, v34, 0x3f575c64, v16
	v_add_f32_e32 v17, v17, v20
	v_mul_f32_e32 v20, 0x3f575c64, v6
	v_add_f32_e32 v12, v15, v12
	v_add_f32_e32 v15, v7, v22
	v_add_f32_e32 v22, v28, v24
	v_mul_f32_e32 v7, 0xbe903f40, v30
	v_fmamk_f32 v24, v5, 0x3f0a6770, v20
	v_fmac_f32_e32 v20, 0xbf0a6770, v5
	v_fma_f32 v16, 0x3f575c64, v34, -v16
	v_mul_f32_e32 v28, 0xbf75a155, v6
	v_fmamk_f32 v35, v34, 0xbf75a155, v7
	v_add_f32_e32 v23, v24, v23
	v_add_f32_e32 v24, v20, v21
	v_mul_f32_e32 v21, 0x3f68dda4, v30
	v_add_f32_e32 v16, v16, v18
	v_fmamk_f32 v18, v5, 0x3e903f40, v28
	v_add_f32_e32 v20, v35, v25
	v_fma_f32 v7, 0xbf75a155, v34, -v7
	v_fmac_f32_e32 v28, 0xbe903f40, v5
	v_fmamk_f32 v25, v34, 0x3ed4b147, v21
	v_sub_f32_e32 v30, v8, v11
	v_add_f32_e32 v36, v36, v40
	v_mul_f32_e32 v6, 0x3ed4b147, v6
	v_add_f32_e32 v27, v7, v27
	v_add_f32_e32 v28, v28, v29
	;; [unrolled: 1-line block ×4, first 2 shown]
	v_mul_f32_e32 v7, 0xbe903f40, v30
	v_add_f32_e32 v31, v8, v11
	v_add_f32_e32 v33, v33, v36
	;; [unrolled: 1-line block ×3, first 2 shown]
	v_fmamk_f32 v26, v5, 0xbf68dda4, v6
	v_fma_f32 v8, 0x3ed4b147, v34, -v21
	v_fmac_f32_e32 v6, 0x3f68dda4, v5
	v_sub_f32_e32 v21, v32, v9
	v_fmamk_f32 v5, v29, 0xbf75a155, v7
	v_mul_f32_e32 v9, 0xbf75a155, v31
	v_add_f32_e32 v26, v26, v33
	v_add_f32_e32 v32, v8, v0
	;; [unrolled: 1-line block ×4, first 2 shown]
	v_fmamk_f32 v1, v21, 0x3e903f40, v9
	v_fma_f32 v5, 0xbf75a155, v29, -v7
	v_mul_f32_e32 v10, 0x3f575c64, v31
	v_mul_f32_e32 v8, 0x3f0a6770, v30
	v_fmac_f32_e32 v9, 0xbe903f40, v21
	v_add_f32_e32 v1, v1, v4
	v_add_f32_e32 v4, v5, v13
	v_fmamk_f32 v7, v21, 0xbf0a6770, v10
	v_fmac_f32_e32 v10, 0x3f0a6770, v21
	v_mul_f32_e32 v13, 0xbf27a4f4, v31
	v_fmamk_f32 v6, v29, 0x3f575c64, v8
	v_add_f32_e32 v5, v9, v14
	v_fma_f32 v8, 0x3f575c64, v29, -v8
	v_mul_f32_e32 v11, 0xbf4178ce, v30
	v_add_f32_e32 v9, v10, v15
	v_fmamk_f32 v14, v21, 0x3f4178ce, v13
	v_mul_f32_e32 v15, 0x3f68dda4, v30
	v_add_f32_e32 v6, v6, v19
	v_add_f32_e32 v7, v7, v17
	;; [unrolled: 1-line block ×3, first 2 shown]
	v_fmamk_f32 v12, v29, 0xbf27a4f4, v11
	v_fma_f32 v17, 0xbf27a4f4, v29, -v11
	v_mul_f32_e32 v19, 0x3ed4b147, v31
	v_add_f32_e32 v11, v14, v23
	v_fmamk_f32 v14, v29, 0x3ed4b147, v15
	v_add_f32_e32 v10, v12, v22
	v_add_f32_e32 v12, v17, v16
	v_fmamk_f32 v16, v21, 0xbf68dda4, v19
	v_mul_f32_e32 v22, 0xbe11bafb, v31
	v_add_f32_e32 v14, v14, v20
	v_mul_f32_e32 v20, 0xbf7d64f0, v30
	v_fma_f32 v17, 0x3ed4b147, v29, -v15
	v_add_f32_e32 v15, v16, v18
	v_fmac_f32_e32 v19, 0x3f68dda4, v21
	v_fmamk_f32 v23, v21, 0x3f7d64f0, v22
	v_fmamk_f32 v18, v29, 0xbe11bafb, v20
	v_fma_f32 v20, 0xbe11bafb, v29, -v20
	v_fmac_f32_e32 v22, 0xbf7d64f0, v21
	v_fmac_f32_e32 v13, 0xbf4178ce, v21
	v_add_f32_e32 v16, v17, v27
	v_add_f32_e32 v17, v19, v28
	;; [unrolled: 1-line block ×7, first 2 shown]
	ds_write2_b64 v86, v[2:3], v[0:1] offset1:121
	ds_write2_b64 v90, v[6:7], v[10:11] offset0:114 offset1:235
	ds_write2_b64 v89, v[14:15], v[18:19] offset0:100 offset1:221
	;; [unrolled: 1-line block ×4, first 2 shown]
	ds_write_b64 v86, v[4:5] offset:9680
	s_waitcnt lgkmcnt(0)
	s_barrier
	buffer_gl0_inv
	ds_read2_b64 v[0:3], v86 offset1:121
	v_mad_u64_u32 v[8:9], null, s2, v60, 0
	v_mad_u64_u32 v[12:13], null, s0, v85, 0
	s_waitcnt lgkmcnt(0)
	v_mul_f32_e32 v4, v82, v1
	v_mul_f32_e32 v5, v82, v0
	v_mul_f32_e32 v14, v76, v3
	v_mul_f32_e32 v15, v76, v2
	v_fmac_f32_e32 v4, v81, v0
	v_fma_f32 v5, v81, v1, -v5
	v_fmac_f32_e32 v14, v75, v2
	v_fma_f32 v15, v75, v3, -v15
	v_cvt_f64_f32_e32 v[0:1], v4
	v_cvt_f64_f32_e32 v[4:5], v5
	;; [unrolled: 1-line block ×4, first 2 shown]
	v_mul_f64 v[0:1], v[0:1], s[6:7]
	v_mul_f64 v[10:11], v[4:5], s[6:7]
	ds_read2_b64 v[4:7], v90 offset0:114 offset1:235
	v_mul_f64 v[14:15], v[14:15], s[6:7]
	s_waitcnt lgkmcnt(0)
	v_mul_f32_e32 v20, v74, v5
	v_mad_u64_u32 v[16:17], null, s3, v60, v[9:10]
	v_mov_b32_e32 v9, v13
	s_load_dwordx2 s[2:3], s[4:5], 0x38
	v_mul_f32_e32 v13, v74, v4
	v_fmac_f32_e32 v20, v73, v4
	v_cvt_f32_f64_e32 v19, v[10:11]
	v_mad_u64_u32 v[17:18], null, s1, v85, v[9:10]
	v_mov_b32_e32 v9, v16
	v_cvt_f32_f64_e32 v18, v[0:1]
	v_fma_f32 v0, v73, v5, -v13
	v_cvt_f64_f32_e32 v[10:11], v20
	s_mulk_i32 s1, 0x3c8
	v_lshlrev_b64 v[4:5], 3, v[8:9]
	v_mov_b32_e32 v13, v17
	v_mul_f64 v[8:9], v[2:3], s[6:7]
	v_cvt_f64_f32_e32 v[16:17], v0
	ds_read2_b64 v[0:3], v89 offset0:100 offset1:221
	v_lshlrev_b64 v[12:13], 3, v[12:13]
	s_waitcnt lgkmcnt(0)
	v_add_co_u32 v4, vcc_lo, s2, v4
	v_add_co_ci_u32_e32 v5, vcc_lo, s3, v5, vcc_lo
	s_mul_hi_u32 s2, s0, 0x3c8
	v_add_co_u32 v12, vcc_lo, v4, v12
	v_add_co_ci_u32_e32 v13, vcc_lo, v5, v13, vcc_lo
	v_mul_f32_e32 v4, v80, v7
	v_mul_f32_e32 v5, v80, v6
	s_mulk_i32 s0, 0x3c8
	global_store_dwordx2 v[12:13], v[18:19], off
	v_cvt_f32_f64_e32 v19, v[14:15]
	v_fmac_f32_e32 v4, v79, v6
	v_cvt_f32_f64_e32 v18, v[8:9]
	v_mul_f64 v[8:9], v[10:11], s[6:7]
	v_mul_f64 v[10:11], v[16:17], s[6:7]
	v_mul_f32_e32 v6, v78, v1
	v_mul_f32_e32 v16, v78, v0
	v_cvt_f64_f32_e32 v[14:15], v4
	v_fma_f32 v5, v79, v7, -v5
	v_mul_f32_e32 v26, v72, v3
	v_fmac_f32_e32 v6, v77, v0
	v_fma_f32 v4, v77, v1, -v16
	v_mul_f32_e32 v27, v72, v2
	v_cvt_f64_f32_e32 v[0:1], v5
	v_fmac_f32_e32 v26, v71, v2
	v_cvt_f64_f32_e32 v[16:17], v6
	v_cvt_f64_f32_e32 v[20:21], v4
	ds_read2_b64 v[4:7], v88 offset0:86 offset1:207
	v_fma_f32 v28, v71, v3, -v27
	s_add_i32 s1, s2, s1
	v_add_co_u32 v12, vcc_lo, v12, s0
	v_add_co_ci_u32_e32 v13, vcc_lo, s1, v13, vcc_lo
	v_cvt_f64_f32_e32 v[28:29], v28
	v_cvt_f32_f64_e32 v22, v[8:9]
	v_cvt_f32_f64_e32 v23, v[10:11]
	ds_read2_b64 v[8:11], v87 offset0:72 offset1:193
	v_add_co_u32 v24, vcc_lo, v12, s0
	v_mul_f64 v[14:15], v[14:15], s[6:7]
	v_add_co_ci_u32_e32 v25, vcc_lo, s1, v13, vcc_lo
	v_mul_f64 v[0:1], v[0:1], s[6:7]
	v_mul_f64 v[2:3], v[16:17], s[6:7]
	;; [unrolled: 1-line block ×3, first 2 shown]
	v_cvt_f64_f32_e32 v[20:21], v26
	ds_read_b64 v[26:27], v86 offset:9680
	s_waitcnt lgkmcnt(2)
	v_mul_f32_e32 v30, v64, v5
	v_mul_f32_e32 v31, v64, v4
	;; [unrolled: 1-line block ×4, first 2 shown]
	global_store_dwordx2 v[12:13], v[18:19], off
	global_store_dwordx2 v[24:25], v[22:23], off
	s_waitcnt lgkmcnt(1)
	v_mul_f32_e32 v34, v62, v9
	v_mul_f32_e32 v36, v68, v11
	;; [unrolled: 1-line block ×3, first 2 shown]
	v_fmac_f32_e32 v30, v63, v4
	v_fma_f32 v31, v63, v5, -v31
	v_fmac_f32_e32 v34, v61, v8
	v_mul_f32_e32 v8, v62, v8
	v_fmac_f32_e32 v32, v65, v6
	v_fma_f32 v33, v65, v7, -v33
	v_fmac_f32_e32 v36, v67, v10
	v_fma_f32 v37, v67, v11, -v37
	v_fma_f32 v8, v61, v9, -v8
	s_waitcnt lgkmcnt(0)
	v_mul_f32_e32 v38, v70, v27
	v_mul_f32_e32 v39, v70, v26
	v_cvt_f64_f32_e32 v[4:5], v30
	v_cvt_f64_f32_e32 v[6:7], v31
	;; [unrolled: 1-line block ×3, first 2 shown]
	v_fmac_f32_e32 v38, v69, v26
	v_fma_f32 v39, v69, v27, -v39
	v_cvt_f64_f32_e32 v[32:33], v33
	v_cvt_f64_f32_e32 v[34:35], v34
	;; [unrolled: 1-line block ×7, first 2 shown]
	v_cvt_f32_f64_e32 v12, v[14:15]
	v_cvt_f32_f64_e32 v13, v[0:1]
	v_mul_f64 v[0:1], v[20:21], s[6:7]
	v_mul_f64 v[14:15], v[28:29], s[6:7]
	v_add_co_u32 v18, vcc_lo, v24, s0
	v_cvt_f32_f64_e32 v2, v[2:3]
	v_cvt_f32_f64_e32 v3, v[16:17]
	v_add_co_ci_u32_e32 v19, vcc_lo, s1, v25, vcc_lo
	v_mul_f64 v[4:5], v[4:5], s[6:7]
	v_mul_f64 v[6:7], v[6:7], s[6:7]
	;; [unrolled: 1-line block ×3, first 2 shown]
	v_add_co_u32 v30, vcc_lo, v18, s0
	v_mul_f64 v[20:21], v[32:33], s[6:7]
	v_mul_f64 v[22:23], v[34:35], s[6:7]
	;; [unrolled: 1-line block ×7, first 2 shown]
	v_add_co_ci_u32_e32 v31, vcc_lo, s1, v19, vcc_lo
	v_cvt_f32_f64_e32 v0, v[0:1]
	v_cvt_f32_f64_e32 v1, v[14:15]
	v_add_co_u32 v14, vcc_lo, v30, s0
	v_add_co_ci_u32_e32 v15, vcc_lo, s1, v31, vcc_lo
	global_store_dwordx2 v[18:19], v[12:13], off
	global_store_dwordx2 v[30:31], v[2:3], off
	v_cvt_f32_f64_e32 v4, v[4:5]
	v_cvt_f32_f64_e32 v5, v[6:7]
	v_add_co_u32 v6, vcc_lo, v14, s0
	v_add_co_ci_u32_e32 v7, vcc_lo, s1, v15, vcc_lo
	v_cvt_f32_f64_e32 v16, v[16:17]
	v_cvt_f32_f64_e32 v17, v[20:21]
	;; [unrolled: 1-line block ×8, first 2 shown]
	v_add_co_u32 v22, vcc_lo, v6, s0
	v_add_co_ci_u32_e32 v23, vcc_lo, s1, v7, vcc_lo
	global_store_dwordx2 v[14:15], v[0:1], off
	v_add_co_u32 v12, vcc_lo, v22, s0
	v_add_co_ci_u32_e32 v13, vcc_lo, s1, v23, vcc_lo
	v_add_co_u32 v2, vcc_lo, v12, s0
	v_add_co_ci_u32_e32 v3, vcc_lo, s1, v13, vcc_lo
	;; [unrolled: 2-line block ×3, first 2 shown]
	global_store_dwordx2 v[6:7], v[4:5], off
	global_store_dwordx2 v[22:23], v[16:17], off
	;; [unrolled: 1-line block ×5, first 2 shown]
.LBB0_2:
	s_endpgm
	.section	.rodata,"a",@progbits
	.p2align	6, 0x0
	.amdhsa_kernel bluestein_single_fwd_len1331_dim1_sp_op_CI_CI
		.amdhsa_group_segment_fixed_size 21296
		.amdhsa_private_segment_fixed_size 0
		.amdhsa_kernarg_size 104
		.amdhsa_user_sgpr_count 6
		.amdhsa_user_sgpr_private_segment_buffer 1
		.amdhsa_user_sgpr_dispatch_ptr 0
		.amdhsa_user_sgpr_queue_ptr 0
		.amdhsa_user_sgpr_kernarg_segment_ptr 1
		.amdhsa_user_sgpr_dispatch_id 0
		.amdhsa_user_sgpr_flat_scratch_init 0
		.amdhsa_user_sgpr_private_segment_size 0
		.amdhsa_wavefront_size32 1
		.amdhsa_uses_dynamic_stack 0
		.amdhsa_system_sgpr_private_segment_wavefront_offset 0
		.amdhsa_system_sgpr_workgroup_id_x 1
		.amdhsa_system_sgpr_workgroup_id_y 0
		.amdhsa_system_sgpr_workgroup_id_z 0
		.amdhsa_system_sgpr_workgroup_info 0
		.amdhsa_system_vgpr_workitem_id 0
		.amdhsa_next_free_vgpr 192
		.amdhsa_next_free_sgpr 20
		.amdhsa_reserve_vcc 1
		.amdhsa_reserve_flat_scratch 0
		.amdhsa_float_round_mode_32 0
		.amdhsa_float_round_mode_16_64 0
		.amdhsa_float_denorm_mode_32 3
		.amdhsa_float_denorm_mode_16_64 3
		.amdhsa_dx10_clamp 1
		.amdhsa_ieee_mode 1
		.amdhsa_fp16_overflow 0
		.amdhsa_workgroup_processor_mode 1
		.amdhsa_memory_ordered 1
		.amdhsa_forward_progress 0
		.amdhsa_shared_vgpr_count 0
		.amdhsa_exception_fp_ieee_invalid_op 0
		.amdhsa_exception_fp_denorm_src 0
		.amdhsa_exception_fp_ieee_div_zero 0
		.amdhsa_exception_fp_ieee_overflow 0
		.amdhsa_exception_fp_ieee_underflow 0
		.amdhsa_exception_fp_ieee_inexact 0
		.amdhsa_exception_int_div_zero 0
	.end_amdhsa_kernel
	.text
.Lfunc_end0:
	.size	bluestein_single_fwd_len1331_dim1_sp_op_CI_CI, .Lfunc_end0-bluestein_single_fwd_len1331_dim1_sp_op_CI_CI
                                        ; -- End function
	.section	.AMDGPU.csdata,"",@progbits
; Kernel info:
; codeLenInByte = 15848
; NumSgprs: 22
; NumVgprs: 192
; ScratchSize: 0
; MemoryBound: 0
; FloatMode: 240
; IeeeMode: 1
; LDSByteSize: 21296 bytes/workgroup (compile time only)
; SGPRBlocks: 2
; VGPRBlocks: 23
; NumSGPRsForWavesPerEU: 22
; NumVGPRsForWavesPerEU: 192
; Occupancy: 5
; WaveLimiterHint : 1
; COMPUTE_PGM_RSRC2:SCRATCH_EN: 0
; COMPUTE_PGM_RSRC2:USER_SGPR: 6
; COMPUTE_PGM_RSRC2:TRAP_HANDLER: 0
; COMPUTE_PGM_RSRC2:TGID_X_EN: 1
; COMPUTE_PGM_RSRC2:TGID_Y_EN: 0
; COMPUTE_PGM_RSRC2:TGID_Z_EN: 0
; COMPUTE_PGM_RSRC2:TIDIG_COMP_CNT: 0
	.text
	.p2alignl 6, 3214868480
	.fill 48, 4, 3214868480
	.type	__hip_cuid_515ed037b4b37b52,@object ; @__hip_cuid_515ed037b4b37b52
	.section	.bss,"aw",@nobits
	.globl	__hip_cuid_515ed037b4b37b52
__hip_cuid_515ed037b4b37b52:
	.byte	0                               ; 0x0
	.size	__hip_cuid_515ed037b4b37b52, 1

	.ident	"AMD clang version 19.0.0git (https://github.com/RadeonOpenCompute/llvm-project roc-6.4.0 25133 c7fe45cf4b819c5991fe208aaa96edf142730f1d)"
	.section	".note.GNU-stack","",@progbits
	.addrsig
	.addrsig_sym __hip_cuid_515ed037b4b37b52
	.amdgpu_metadata
---
amdhsa.kernels:
  - .args:
      - .actual_access:  read_only
        .address_space:  global
        .offset:         0
        .size:           8
        .value_kind:     global_buffer
      - .actual_access:  read_only
        .address_space:  global
        .offset:         8
        .size:           8
        .value_kind:     global_buffer
      - .actual_access:  read_only
        .address_space:  global
        .offset:         16
        .size:           8
        .value_kind:     global_buffer
      - .actual_access:  read_only
        .address_space:  global
        .offset:         24
        .size:           8
        .value_kind:     global_buffer
      - .actual_access:  read_only
        .address_space:  global
        .offset:         32
        .size:           8
        .value_kind:     global_buffer
      - .offset:         40
        .size:           8
        .value_kind:     by_value
      - .address_space:  global
        .offset:         48
        .size:           8
        .value_kind:     global_buffer
      - .address_space:  global
        .offset:         56
        .size:           8
        .value_kind:     global_buffer
      - .address_space:  global
        .offset:         64
        .size:           8
        .value_kind:     global_buffer
      - .address_space:  global
        .offset:         72
        .size:           8
        .value_kind:     global_buffer
      - .offset:         80
        .size:           4
        .value_kind:     by_value
      - .address_space:  global
        .offset:         88
        .size:           8
        .value_kind:     global_buffer
      - .address_space:  global
        .offset:         96
        .size:           8
        .value_kind:     global_buffer
    .group_segment_fixed_size: 21296
    .kernarg_segment_align: 8
    .kernarg_segment_size: 104
    .language:       OpenCL C
    .language_version:
      - 2
      - 0
    .max_flat_workgroup_size: 242
    .name:           bluestein_single_fwd_len1331_dim1_sp_op_CI_CI
    .private_segment_fixed_size: 0
    .sgpr_count:     22
    .sgpr_spill_count: 0
    .symbol:         bluestein_single_fwd_len1331_dim1_sp_op_CI_CI.kd
    .uniform_work_group_size: 1
    .uses_dynamic_stack: false
    .vgpr_count:     192
    .vgpr_spill_count: 0
    .wavefront_size: 32
    .workgroup_processor_mode: 1
amdhsa.target:   amdgcn-amd-amdhsa--gfx1030
amdhsa.version:
  - 1
  - 2
...

	.end_amdgpu_metadata
